;; amdgpu-corpus repo=ROCm/rocFFT kind=compiled arch=gfx906 opt=O3
	.text
	.amdgcn_target "amdgcn-amd-amdhsa--gfx906"
	.amdhsa_code_object_version 6
	.protected	fft_rtc_back_len1092_factors_2_2_13_7_3_wgs_52_tpt_52_halfLds_dp_ip_CI_sbrr_dirReg ; -- Begin function fft_rtc_back_len1092_factors_2_2_13_7_3_wgs_52_tpt_52_halfLds_dp_ip_CI_sbrr_dirReg
	.globl	fft_rtc_back_len1092_factors_2_2_13_7_3_wgs_52_tpt_52_halfLds_dp_ip_CI_sbrr_dirReg
	.p2align	8
	.type	fft_rtc_back_len1092_factors_2_2_13_7_3_wgs_52_tpt_52_halfLds_dp_ip_CI_sbrr_dirReg,@function
fft_rtc_back_len1092_factors_2_2_13_7_3_wgs_52_tpt_52_halfLds_dp_ip_CI_sbrr_dirReg: ; @fft_rtc_back_len1092_factors_2_2_13_7_3_wgs_52_tpt_52_halfLds_dp_ip_CI_sbrr_dirReg
; %bb.0:
	s_mov_b64 s[50:51], s[2:3]
	s_mov_b64 s[48:49], s[0:1]
	s_load_dwordx2 s[2:3], s[4:5], 0x18
	s_load_dwordx4 s[8:11], s[4:5], 0x0
	s_load_dwordx2 s[14:15], s[4:5], 0x50
	v_mul_u32_u24_e32 v1, 0x4ed, v0
	s_add_u32 s48, s48, s7
	s_waitcnt lgkmcnt(0)
	s_load_dwordx2 s[12:13], s[2:3], 0x0
	v_cmp_lt_u64_e64 s[0:1], s[10:11], 2
	v_add_u32_sdwa v5, s6, v1 dst_sel:DWORD dst_unused:UNUSED_PAD src0_sel:DWORD src1_sel:WORD_1
	v_mov_b32_e32 v3, 0
	v_mov_b32_e32 v1, 0
	s_addc_u32 s49, s49, 0
	v_mov_b32_e32 v6, v3
	s_and_b64 vcc, exec, s[0:1]
	v_mov_b32_e32 v2, 0
	s_cbranch_vccnz .LBB0_8
; %bb.1:
	s_load_dwordx2 s[0:1], s[4:5], 0x10
	s_add_u32 s6, s2, 8
	s_addc_u32 s7, s3, 0
	v_mov_b32_e32 v1, 0
	v_mov_b32_e32 v2, 0
	s_waitcnt lgkmcnt(0)
	s_add_u32 s16, s0, 8
	s_addc_u32 s17, s1, 0
	s_mov_b64 s[18:19], 1
.LBB0_2:                                ; =>This Inner Loop Header: Depth=1
	s_load_dwordx2 s[20:21], s[16:17], 0x0
                                        ; implicit-def: $vgpr7_vgpr8
	s_waitcnt lgkmcnt(0)
	v_or_b32_e32 v4, s21, v6
	v_cmp_ne_u64_e32 vcc, 0, v[3:4]
	s_and_saveexec_b64 s[0:1], vcc
	s_xor_b64 s[22:23], exec, s[0:1]
	s_cbranch_execz .LBB0_4
; %bb.3:                                ;   in Loop: Header=BB0_2 Depth=1
	v_cvt_f32_u32_e32 v4, s20
	v_cvt_f32_u32_e32 v7, s21
	s_sub_u32 s0, 0, s20
	s_subb_u32 s1, 0, s21
	v_mac_f32_e32 v4, 0x4f800000, v7
	v_rcp_f32_e32 v4, v4
	v_mul_f32_e32 v4, 0x5f7ffffc, v4
	v_mul_f32_e32 v7, 0x2f800000, v4
	v_trunc_f32_e32 v7, v7
	v_mac_f32_e32 v4, 0xcf800000, v7
	v_cvt_u32_f32_e32 v7, v7
	v_cvt_u32_f32_e32 v4, v4
	v_mul_lo_u32 v8, s0, v7
	v_mul_hi_u32 v9, s0, v4
	v_mul_lo_u32 v11, s1, v4
	v_mul_lo_u32 v10, s0, v4
	v_add_u32_e32 v8, v9, v8
	v_add_u32_e32 v8, v8, v11
	v_mul_hi_u32 v9, v4, v10
	v_mul_lo_u32 v11, v4, v8
	v_mul_hi_u32 v13, v4, v8
	v_mul_hi_u32 v12, v7, v10
	v_mul_lo_u32 v10, v7, v10
	v_mul_hi_u32 v14, v7, v8
	v_add_co_u32_e32 v9, vcc, v9, v11
	v_addc_co_u32_e32 v11, vcc, 0, v13, vcc
	v_mul_lo_u32 v8, v7, v8
	v_add_co_u32_e32 v9, vcc, v9, v10
	v_addc_co_u32_e32 v9, vcc, v11, v12, vcc
	v_addc_co_u32_e32 v10, vcc, 0, v14, vcc
	v_add_co_u32_e32 v8, vcc, v9, v8
	v_addc_co_u32_e32 v9, vcc, 0, v10, vcc
	v_add_co_u32_e32 v4, vcc, v4, v8
	v_addc_co_u32_e32 v7, vcc, v7, v9, vcc
	v_mul_lo_u32 v8, s0, v7
	v_mul_hi_u32 v9, s0, v4
	v_mul_lo_u32 v10, s1, v4
	v_mul_lo_u32 v11, s0, v4
	v_add_u32_e32 v8, v9, v8
	v_add_u32_e32 v8, v8, v10
	v_mul_lo_u32 v12, v4, v8
	v_mul_hi_u32 v13, v4, v11
	v_mul_hi_u32 v14, v4, v8
	;; [unrolled: 1-line block ×3, first 2 shown]
	v_mul_lo_u32 v11, v7, v11
	v_mul_hi_u32 v9, v7, v8
	v_add_co_u32_e32 v12, vcc, v13, v12
	v_addc_co_u32_e32 v13, vcc, 0, v14, vcc
	v_mul_lo_u32 v8, v7, v8
	v_add_co_u32_e32 v11, vcc, v12, v11
	v_addc_co_u32_e32 v10, vcc, v13, v10, vcc
	v_addc_co_u32_e32 v9, vcc, 0, v9, vcc
	v_add_co_u32_e32 v8, vcc, v10, v8
	v_addc_co_u32_e32 v9, vcc, 0, v9, vcc
	v_add_co_u32_e32 v4, vcc, v4, v8
	v_addc_co_u32_e32 v9, vcc, v7, v9, vcc
	v_mad_u64_u32 v[7:8], s[0:1], v5, v9, 0
	v_mul_hi_u32 v10, v5, v4
	v_add_co_u32_e32 v11, vcc, v10, v7
	v_addc_co_u32_e32 v12, vcc, 0, v8, vcc
	v_mad_u64_u32 v[7:8], s[0:1], v6, v4, 0
	v_mad_u64_u32 v[9:10], s[0:1], v6, v9, 0
	v_add_co_u32_e32 v4, vcc, v11, v7
	v_addc_co_u32_e32 v4, vcc, v12, v8, vcc
	v_addc_co_u32_e32 v7, vcc, 0, v10, vcc
	v_add_co_u32_e32 v4, vcc, v4, v9
	v_addc_co_u32_e32 v9, vcc, 0, v7, vcc
	v_mul_lo_u32 v10, s21, v4
	v_mul_lo_u32 v11, s20, v9
	v_mad_u64_u32 v[7:8], s[0:1], s20, v4, 0
	v_add3_u32 v8, v8, v11, v10
	v_sub_u32_e32 v10, v6, v8
	v_mov_b32_e32 v11, s21
	v_sub_co_u32_e32 v7, vcc, v5, v7
	v_subb_co_u32_e64 v10, s[0:1], v10, v11, vcc
	v_subrev_co_u32_e64 v11, s[0:1], s20, v7
	v_subbrev_co_u32_e64 v10, s[0:1], 0, v10, s[0:1]
	v_cmp_le_u32_e64 s[0:1], s21, v10
	v_cndmask_b32_e64 v12, 0, -1, s[0:1]
	v_cmp_le_u32_e64 s[0:1], s20, v11
	v_cndmask_b32_e64 v11, 0, -1, s[0:1]
	v_cmp_eq_u32_e64 s[0:1], s21, v10
	v_cndmask_b32_e64 v10, v12, v11, s[0:1]
	v_add_co_u32_e64 v11, s[0:1], 2, v4
	v_addc_co_u32_e64 v12, s[0:1], 0, v9, s[0:1]
	v_add_co_u32_e64 v13, s[0:1], 1, v4
	v_addc_co_u32_e64 v14, s[0:1], 0, v9, s[0:1]
	v_subb_co_u32_e32 v8, vcc, v6, v8, vcc
	v_cmp_ne_u32_e64 s[0:1], 0, v10
	v_cmp_le_u32_e32 vcc, s21, v8
	v_cndmask_b32_e64 v10, v14, v12, s[0:1]
	v_cndmask_b32_e64 v12, 0, -1, vcc
	v_cmp_le_u32_e32 vcc, s20, v7
	v_cndmask_b32_e64 v7, 0, -1, vcc
	v_cmp_eq_u32_e32 vcc, s21, v8
	v_cndmask_b32_e32 v7, v12, v7, vcc
	v_cmp_ne_u32_e32 vcc, 0, v7
	v_cndmask_b32_e64 v7, v13, v11, s[0:1]
	v_cndmask_b32_e32 v8, v9, v10, vcc
	v_cndmask_b32_e32 v7, v4, v7, vcc
.LBB0_4:                                ;   in Loop: Header=BB0_2 Depth=1
	s_andn2_saveexec_b64 s[0:1], s[22:23]
	s_cbranch_execz .LBB0_6
; %bb.5:                                ;   in Loop: Header=BB0_2 Depth=1
	v_cvt_f32_u32_e32 v4, s20
	s_sub_i32 s22, 0, s20
	v_rcp_iflag_f32_e32 v4, v4
	v_mul_f32_e32 v4, 0x4f7ffffe, v4
	v_cvt_u32_f32_e32 v4, v4
	v_mul_lo_u32 v7, s22, v4
	v_mul_hi_u32 v7, v4, v7
	v_add_u32_e32 v4, v4, v7
	v_mul_hi_u32 v4, v5, v4
	v_mul_lo_u32 v7, v4, s20
	v_add_u32_e32 v8, 1, v4
	v_sub_u32_e32 v7, v5, v7
	v_subrev_u32_e32 v9, s20, v7
	v_cmp_le_u32_e32 vcc, s20, v7
	v_cndmask_b32_e32 v7, v7, v9, vcc
	v_cndmask_b32_e32 v4, v4, v8, vcc
	v_add_u32_e32 v8, 1, v4
	v_cmp_le_u32_e32 vcc, s20, v7
	v_cndmask_b32_e32 v7, v4, v8, vcc
	v_mov_b32_e32 v8, v3
.LBB0_6:                                ;   in Loop: Header=BB0_2 Depth=1
	s_or_b64 exec, exec, s[0:1]
	v_mul_lo_u32 v4, v8, s20
	v_mul_lo_u32 v11, v7, s21
	v_mad_u64_u32 v[9:10], s[0:1], v7, s20, 0
	s_load_dwordx2 s[0:1], s[6:7], 0x0
	s_add_u32 s18, s18, 1
	v_add3_u32 v4, v10, v11, v4
	v_sub_co_u32_e32 v5, vcc, v5, v9
	v_subb_co_u32_e32 v4, vcc, v6, v4, vcc
	s_waitcnt lgkmcnt(0)
	v_mul_lo_u32 v4, s0, v4
	v_mul_lo_u32 v6, s1, v5
	v_mad_u64_u32 v[1:2], s[0:1], s0, v5, v[1:2]
	s_addc_u32 s19, s19, 0
	s_add_u32 s6, s6, 8
	v_add3_u32 v2, v6, v2, v4
	v_mov_b32_e32 v4, s10
	v_mov_b32_e32 v5, s11
	s_addc_u32 s7, s7, 0
	v_cmp_ge_u64_e32 vcc, s[18:19], v[4:5]
	s_add_u32 s16, s16, 8
	s_addc_u32 s17, s17, 0
	s_cbranch_vccnz .LBB0_9
; %bb.7:                                ;   in Loop: Header=BB0_2 Depth=1
	v_mov_b32_e32 v5, v7
	v_mov_b32_e32 v6, v8
	s_branch .LBB0_2
.LBB0_8:
	v_mov_b32_e32 v8, v6
	v_mov_b32_e32 v7, v5
.LBB0_9:
	s_lshl_b64 s[0:1], s[10:11], 3
	s_add_u32 s0, s2, s0
	s_addc_u32 s1, s3, s1
	s_load_dwordx2 s[2:3], s[0:1], 0x0
	s_load_dwordx2 s[6:7], s[4:5], 0x20
                                        ; implicit-def: $vgpr157
                                        ; implicit-def: $vgpr151
                                        ; implicit-def: $vgpr112
                                        ; implicit-def: $vgpr113
                                        ; implicit-def: $vgpr114
                                        ; implicit-def: $vgpr120
                                        ; implicit-def: $vgpr121
                                        ; implicit-def: $vgpr136
                                        ; implicit-def: $vgpr137
	s_waitcnt lgkmcnt(0)
	v_mad_u64_u32 v[1:2], s[0:1], s2, v7, v[1:2]
	s_mov_b32 s0, 0x4ec4ec5
	v_mul_lo_u32 v3, s2, v8
	v_mul_lo_u32 v4, s3, v7
	v_mul_hi_u32 v5, v0, s0
	v_cmp_gt_u64_e32 vcc, s[6:7], v[7:8]
	v_cmp_le_u64_e64 s[0:1], s[6:7], v[7:8]
	v_add3_u32 v2, v4, v2, v3
	v_mul_u32_u24_e32 v3, 52, v5
	v_sub_u32_e32 v146, v0, v3
	s_and_saveexec_b64 s[2:3], s[0:1]
	s_xor_b64 s[0:1], exec, s[2:3]
; %bb.10:
	v_add_u32_e32 v157, 52, v146
	v_add_u32_e32 v151, 0x68, v146
	;; [unrolled: 1-line block ×9, first 2 shown]
; %bb.11:
	s_or_saveexec_b64 s[2:3], s[0:1]
	v_lshlrev_b64 v[0:1], 4, v[1:2]
                                        ; implicit-def: $vgpr108_vgpr109
                                        ; implicit-def: $vgpr92_vgpr93
                                        ; implicit-def: $vgpr56_vgpr57
                                        ; implicit-def: $vgpr48_vgpr49
                                        ; implicit-def: $vgpr64_vgpr65
                                        ; implicit-def: $vgpr6_vgpr7
                                        ; implicit-def: $vgpr52_vgpr53
                                        ; implicit-def: $vgpr10_vgpr11
                                        ; implicit-def: $vgpr60_vgpr61
                                        ; implicit-def: $vgpr14_vgpr15
                                        ; implicit-def: $vgpr68_vgpr69
                                        ; implicit-def: $vgpr18_vgpr19
                                        ; implicit-def: $vgpr76_vgpr77
                                        ; implicit-def: $vgpr22_vgpr23
                                        ; implicit-def: $vgpr80_vgpr81
                                        ; implicit-def: $vgpr44_vgpr45
                                        ; implicit-def: $vgpr100_vgpr101
                                        ; implicit-def: $vgpr84_vgpr85
                                        ; implicit-def: $vgpr104_vgpr105
                                        ; implicit-def: $vgpr88_vgpr89
                                        ; implicit-def: $vgpr96_vgpr97
                                        ; implicit-def: $vgpr72_vgpr73
	buffer_store_dword v0, off, s[48:51], 0 ; 4-byte Folded Spill
	s_nop 0
	buffer_store_dword v1, off, s[48:51], 0 offset:4 ; 4-byte Folded Spill
	s_xor_b64 exec, exec, s[2:3]
	s_cbranch_execz .LBB0_15
; %bb.12:
	v_mad_u64_u32 v[2:3], s[0:1], s12, v146, 0
	v_add_u32_e32 v7, 0x222, v146
	v_mad_u64_u32 v[4:5], s[0:1], s12, v7, 0
	v_mov_b32_e32 v0, v3
	v_mad_u64_u32 v[0:1], s[0:1], s13, v146, v[0:1]
	v_mov_b32_e32 v6, s15
	v_add_u32_e32 v8, 52, v146
	v_mov_b32_e32 v3, v0
	buffer_load_dword v0, off, s[48:51], 0  ; 4-byte Folded Reload
	buffer_load_dword v1, off, s[48:51], 0 offset:4 ; 4-byte Folded Reload
	v_lshlrev_b64 v[2:3], 4, v[2:3]
	v_add_u32_e32 v10, 0x256, v146
	v_add_u32_e32 v151, 0x68, v146
	;; [unrolled: 1-line block ×9, first 2 shown]
                                        ; implicit-def: $vgpr106_vgpr107
	s_waitcnt vmcnt(1)
	v_add_co_u32_e64 v0, s[0:1], s14, v0
	s_waitcnt vmcnt(0)
	v_addc_co_u32_e64 v1, s[0:1], v6, v1, s[0:1]
	v_mad_u64_u32 v[5:6], s[0:1], s13, v7, v[5:6]
	v_mad_u64_u32 v[6:7], s[0:1], s12, v8, 0
	v_add_co_u32_e64 v2, s[0:1], v0, v2
	v_addc_co_u32_e64 v3, s[0:1], v1, v3, s[0:1]
	v_mad_u64_u32 v[7:8], s[0:1], s13, v8, v[7:8]
	v_mad_u64_u32 v[8:9], s[0:1], s12, v10, 0
	v_lshlrev_b64 v[4:5], 4, v[4:5]
	v_lshlrev_b64 v[6:7], 4, v[6:7]
	v_add_co_u32_e64 v4, s[0:1], v0, v4
	v_addc_co_u32_e64 v5, s[0:1], v1, v5, s[0:1]
	v_mad_u64_u32 v[9:10], s[0:1], s13, v10, v[9:10]
	v_mad_u64_u32 v[10:11], s[0:1], s12, v151, 0
	v_add_co_u32_e64 v24, s[0:1], v0, v6
	v_addc_co_u32_e64 v25, s[0:1], v1, v7, s[0:1]
	v_lshlrev_b64 v[6:7], 4, v[8:9]
	v_mov_b32_e32 v8, v11
	v_mad_u64_u32 v[8:9], s[0:1], s13, v151, v[8:9]
	v_add_u32_e32 v9, 0x28a, v146
	v_mad_u64_u32 v[12:13], s[0:1], s12, v9, 0
	v_add_co_u32_e64 v26, s[0:1], v0, v6
	v_mov_b32_e32 v11, v8
	v_mov_b32_e32 v8, v13
	v_addc_co_u32_e64 v27, s[0:1], v1, v7, s[0:1]
	v_mad_u64_u32 v[8:9], s[0:1], s13, v9, v[8:9]
	v_lshlrev_b64 v[6:7], 4, v[10:11]
	v_mad_u64_u32 v[9:10], s[0:1], s12, v112, 0
	v_add_co_u32_e64 v28, s[0:1], v0, v6
	v_mov_b32_e32 v13, v8
	v_mov_b32_e32 v8, v10
	v_addc_co_u32_e64 v29, s[0:1], v1, v7, s[0:1]
	v_lshlrev_b64 v[6:7], 4, v[12:13]
	v_mad_u64_u32 v[10:11], s[0:1], s13, v112, v[8:9]
	v_add_u32_e32 v13, 0x2be, v146
	v_mad_u64_u32 v[11:12], s[0:1], s12, v13, 0
	v_add_co_u32_e64 v30, s[0:1], v0, v6
	v_mov_b32_e32 v8, v12
	v_addc_co_u32_e64 v31, s[0:1], v1, v7, s[0:1]
	v_lshlrev_b64 v[6:7], 4, v[9:10]
	v_mad_u64_u32 v[8:9], s[0:1], s13, v13, v[8:9]
	v_mad_u64_u32 v[9:10], s[0:1], s12, v113, 0
	v_add_co_u32_e64 v32, s[0:1], v0, v6
	v_mov_b32_e32 v12, v8
	v_mov_b32_e32 v8, v10
	v_addc_co_u32_e64 v33, s[0:1], v1, v7, s[0:1]
	v_lshlrev_b64 v[6:7], 4, v[11:12]
	v_mad_u64_u32 v[10:11], s[0:1], s13, v113, v[8:9]
	v_add_u32_e32 v13, 0x2f2, v146
	v_mad_u64_u32 v[11:12], s[0:1], s12, v13, 0
	v_add_co_u32_e64 v34, s[0:1], v0, v6
	v_mov_b32_e32 v8, v12
	v_addc_co_u32_e64 v35, s[0:1], v1, v7, s[0:1]
	v_lshlrev_b64 v[6:7], 4, v[9:10]
	v_mad_u64_u32 v[8:9], s[0:1], s13, v13, v[8:9]
	;; [unrolled: 14-line block ×7, first 2 shown]
	v_add_co_u32_e64 v92, s[0:1], v0, v6
	v_mov_b32_e32 v12, v8
	global_load_dwordx4 v[70:73], v[2:3], off
	global_load_dwordx4 v[94:97], v[4:5], off
	v_lshlrev_b64 v[2:3], 4, v[11:12]
	v_addc_co_u32_e64 v93, s[0:1], v1, v7, s[0:1]
	v_add_co_u32_e64 v2, s[0:1], v0, v2
	v_addc_co_u32_e64 v3, s[0:1], v1, v3, s[0:1]
	global_load_dwordx4 v[86:89], v[24:25], off
	global_load_dwordx4 v[102:105], v[26:27], off
	;; [unrolled: 1-line block ×15, first 2 shown]
                                        ; kill: killed $vgpr62 killed $vgpr63
                                        ; kill: killed $vgpr26 killed $vgpr27
                                        ; kill: killed $vgpr48 killed $vgpr49
                                        ; kill: killed $vgpr54 killed $vgpr55
                                        ; kill: killed $vgpr40 killed $vgpr41
                                        ; kill: killed $vgpr46 killed $vgpr47
                                        ; kill: killed $vgpr36 killed $vgpr37
                                        ; kill: killed $vgpr38 killed $vgpr39
                                        ; kill: killed $vgpr32 killed $vgpr33
                                        ; kill: killed $vgpr34 killed $vgpr35
                                        ; kill: killed $vgpr64 killed $vgpr65
                                        ; kill: killed $vgpr28 killed $vgpr29
                                        ; kill: killed $vgpr30 killed $vgpr31
                                        ; kill: killed $vgpr56 killed $vgpr57
                                        ; kill: killed $vgpr24 killed $vgpr25
	s_nop 0
	global_load_dwordx4 v[62:65], v[90:91], off
	global_load_dwordx4 v[46:49], v[92:93], off
	;; [unrolled: 1-line block ×3, first 2 shown]
	v_cmp_gt_u32_e64 s[0:1], 26, v146
                                        ; implicit-def: $vgpr90_vgpr91
	s_and_saveexec_b64 s[4:5], s[0:1]
	s_cbranch_execz .LBB0_14
; %bb.13:
	v_add_u32_e32 v26, 0x208, v146
	v_mad_u64_u32 v[2:3], s[0:1], s12, v26, 0
	v_add_u32_e32 v28, 0x42a, v146
	v_mad_u64_u32 v[24:25], s[0:1], s12, v28, 0
	s_waitcnt vmcnt(3)
	v_mad_u64_u32 v[26:27], s[0:1], s13, v26, v[3:4]
	v_mov_b32_e32 v3, v26
	v_mad_u64_u32 v[25:26], s[0:1], s13, v28, v[25:26]
	v_lshlrev_b64 v[2:3], 4, v[2:3]
	v_add_co_u32_e64 v2, s[0:1], v0, v2
	v_lshlrev_b64 v[24:25], 4, v[24:25]
	v_addc_co_u32_e64 v3, s[0:1], v1, v3, s[0:1]
	v_add_co_u32_e64 v0, s[0:1], v0, v24
	v_addc_co_u32_e64 v1, s[0:1], v1, v25, s[0:1]
	global_load_dwordx4 v[90:93], v[2:3], off
	global_load_dwordx4 v[106:109], v[0:1], off
.LBB0_14:
	s_or_b64 exec, exec, s[4:5]
	v_add_u32_e32 v157, 52, v146
.LBB0_15:
	s_or_b64 exec, exec, s[2:3]
	s_waitcnt vmcnt(18)
	v_add_f64 v[2:3], v[70:71], -v[94:95]
	s_waitcnt vmcnt(14)
	v_add_f64 v[30:31], v[82:83], -v[98:99]
	;; [unrolled: 2-line block ×3, first 2 shown]
	v_add_f64 v[26:27], v[86:87], -v[102:103]
	s_waitcnt vmcnt(8)
	v_add_f64 v[117:118], v[16:17], -v[66:67]
	v_lshl_add_u32 v79, v146, 4, 0
	v_lshl_add_u32 v66, v151, 4, 0
	;; [unrolled: 1-line block ×3, first 2 shown]
	v_fma_f64 v[0:1], v[70:71], 2.0, -v[2:3]
	v_fma_f64 v[28:29], v[82:83], 2.0, -v[30:31]
	;; [unrolled: 1-line block ×4, first 2 shown]
	v_add_f64 v[38:39], v[20:21], -v[74:75]
	s_waitcnt vmcnt(6)
	v_add_f64 v[124:125], v[12:13], -v[58:59]
	v_lshl_add_u32 v86, v157, 4, 0
	v_fma_f64 v[115:116], v[16:17], 2.0, -v[117:118]
	ds_write_b128 v79, v[0:3]
	ds_write_b128 v86, v[24:27]
	;; [unrolled: 1-line block ×3, first 2 shown]
	s_waitcnt vmcnt(4)
	v_add_f64 v[26:27], v[8:9], -v[50:51]
	ds_write_b128 v67, v[32:35]
	s_waitcnt vmcnt(2)
	v_add_f64 v[30:31], v[4:5], -v[62:63]
	s_waitcnt vmcnt(0)
	v_add_f64 v[34:35], v[46:47], -v[54:55]
	v_add_f64 v[2:3], v[90:91], -v[106:107]
	v_fma_f64 v[36:37], v[20:21], 2.0, -v[38:39]
	v_fma_f64 v[122:123], v[12:13], 2.0, -v[124:125]
	v_add_u32_e32 v150, 0x208, v146
	v_fma_f64 v[24:25], v[8:9], 2.0, -v[26:27]
	v_lshl_add_u32 v70, v113, 4, 0
	v_fma_f64 v[28:29], v[4:5], 2.0, -v[30:31]
	v_fma_f64 v[32:33], v[46:47], 2.0, -v[34:35]
	;; [unrolled: 1-line block ×3, first 2 shown]
	v_lshl_add_u32 v71, v114, 4, 0
	v_lshl_add_u32 v78, v120, 4, 0
	;; [unrolled: 1-line block ×5, first 2 shown]
	v_cmp_gt_u32_e64 s[2:3], 26, v146
	v_lshl_add_u32 v82, v150, 4, 0
	ds_write_b128 v70, v[36:39]
	ds_write_b128 v71, v[115:118]
	ds_write_b128 v78, v[122:125]
	ds_write_b128 v90, v[24:27]
	ds_write_b128 v91, v[28:31]
	ds_write_b128 v98, v[32:35]
	s_and_saveexec_b64 s[0:1], s[2:3]
	s_cbranch_execz .LBB0_17
; %bb.16:
	ds_write_b128 v82, v[0:3]
.LBB0_17:
	s_or_b64 exec, exec, s[0:1]
	v_lshl_add_u32 v149, v146, 3, 0
	v_lshlrev_b32_e32 v83, 3, v151
	v_lshlrev_b32_e32 v94, 3, v112
	;; [unrolled: 1-line block ×3, first 2 shown]
	v_add_u32_e32 v4, 0x1000, v149
	v_sub_u32_e32 v5, v66, v83
	v_sub_u32_e32 v16, v67, v94
	;; [unrolled: 1-line block ×3, first 2 shown]
	v_add_u32_e32 v21, 0x1400, v149
	v_lshlrev_b32_e32 v74, 3, v114
	v_lshlrev_b32_e32 v75, 3, v120
	v_add_u32_e32 v42, 0x1800, v149
	v_lshlrev_b32_e32 v99, 3, v121
	s_waitcnt lgkmcnt(0)
	; wave barrier
	s_waitcnt lgkmcnt(0)
	ds_read2_b64 v[24:27], v4 offset0:34 offset1:86
	v_lshl_add_u32 v152, v157, 3, 0
	ds_read2_b64 v[28:31], v4 offset0:138 offset1:190
	ds_read_b64 v[8:9], v149
	ds_read_b64 v[12:13], v152
	;; [unrolled: 1-line block ×4, first 2 shown]
	ds_read2_b64 v[36:39], v21 offset0:114 offset1:166
	v_sub_u32_e32 v40, v71, v74
	v_sub_u32_e32 v41, v78, v75
	ds_read2_b64 v[32:35], v42 offset0:90 offset1:142
	v_sub_u32_e32 v43, v90, v99
	ds_read_b64 v[20:21], v20
	ds_read_b64 v[46:47], v40
	;; [unrolled: 1-line block ×4, first 2 shown]
	v_lshlrev_b32_e32 v106, 3, v136
	v_lshlrev_b32_e32 v107, 3, v137
	v_sub_u32_e32 v58, v91, v106
	v_sub_u32_e32 v59, v98, v107
	ds_read2_b64 v[40:43], v42 offset0:194 offset1:246
	ds_read_b64 v[62:63], v58
	ds_read_b64 v[58:59], v59
	s_and_saveexec_b64 s[0:1], s[2:3]
	s_cbranch_execz .LBB0_19
; %bb.18:
	ds_read_b64 v[0:1], v149 offset:4160
	ds_read_b64 v[2:3], v149 offset:8528
.LBB0_19:
	s_or_b64 exec, exec, s[0:1]
	v_sub_u32_e32 v95, 0, v94
	v_sub_u32_e32 v94, 0, v102
	v_add_f64 v[117:118], v[72:73], -v[96:97]
	v_sub_u32_e32 v103, 0, v74
	v_sub_u32_e32 v102, 0, v75
	v_add_f64 v[74:75], v[92:93], -v[108:109]
	v_add_f64 v[124:125], v[88:89], -v[104:105]
	;; [unrolled: 1-line block ×3, first 2 shown]
	v_sub_u32_e32 v97, 0, v106
	v_sub_u32_e32 v96, 0, v107
	v_add_f64 v[106:107], v[44:45], -v[80:81]
	v_add_f64 v[132:133], v[22:23], -v[76:77]
	;; [unrolled: 1-line block ×5, first 2 shown]
	v_fma_f64 v[115:116], v[72:73], 2.0, -v[117:118]
	v_add_f64 v[160:161], v[6:7], -v[64:65]
	v_add_f64 v[164:165], v[48:49], -v[56:57]
	v_fma_f64 v[72:73], v[92:93], 2.0, -v[74:75]
	v_fma_f64 v[122:123], v[88:89], 2.0, -v[124:125]
	;; [unrolled: 1-line block ×7, first 2 shown]
	v_sub_u32_e32 v87, 0, v83
	v_sub_u32_e32 v99, 0, v99
	v_fma_f64 v[153:154], v[10:11], 2.0, -v[155:156]
	v_fma_f64 v[158:159], v[6:7], 2.0, -v[160:161]
	;; [unrolled: 1-line block ×3, first 2 shown]
	s_waitcnt lgkmcnt(0)
	; wave barrier
	s_waitcnt lgkmcnt(0)
	ds_write_b128 v79, v[115:118]
	ds_write_b128 v86, v[122:125]
	;; [unrolled: 1-line block ×10, first 2 shown]
	s_and_saveexec_b64 s[0:1], s[2:3]
	s_cbranch_execz .LBB0_21
; %bb.20:
	ds_write_b128 v82, v[72:75]
.LBB0_21:
	s_or_b64 exec, exec, s[0:1]
	v_add_u32_e32 v6, 0x1000, v149
	s_waitcnt lgkmcnt(0)
	; wave barrier
	s_waitcnt lgkmcnt(0)
	ds_read2_b64 v[80:83], v6 offset0:34 offset1:86
	v_add_u32_e32 v105, v66, v87
	ds_read2_b64 v[84:87], v6 offset0:138 offset1:190
	v_add_u32_e32 v6, 0x1400, v149
	v_lshlrev_b32_e32 v108, 1, v114
	v_add_u32_e32 v153, v67, v95
	ds_read_b64 v[126:127], v149
	ds_read_b64 v[128:129], v152
	;; [unrolled: 1-line block ×4, first 2 shown]
	v_add_u32_e32 v154, v70, v94
	ds_read2_b64 v[92:95], v6 offset0:114 offset1:166
	v_add_u32_e32 v6, 0x1800, v149
	v_add_u32_e32 v7, v90, v99
	;; [unrolled: 1-line block ×4, first 2 shown]
	ds_read2_b64 v[76:79], v6 offset0:90 offset1:142
	ds_read_b64 v[116:117], v154
	ds_read_b64 v[118:119], v155
	;; [unrolled: 1-line block ×3, first 2 shown]
	buffer_store_dword v7, off, s[48:51], 0 offset:8 ; 4-byte Folded Spill
	ds_read_b64 v[124:125], v7
	v_add_u32_e32 v7, v91, v97
	ds_read2_b64 v[88:91], v6 offset0:194 offset1:246
	v_add_u32_e32 v103, v98, v96
	ds_read_b64 v[132:133], v7
	ds_read_b64 v[134:135], v103
	v_lshlrev_b32_e32 v100, 1, v146
	v_lshlrev_b32_e32 v101, 1, v157
	;; [unrolled: 1-line block ×9, first 2 shown]
	s_and_saveexec_b64 s[0:1], s[2:3]
	s_cbranch_execz .LBB0_23
; %bb.22:
	ds_read_b64 v[72:73], v149 offset:4160
	ds_read_b64 v[74:75], v149 offset:8528
.LBB0_23:
	s_or_b64 exec, exec, s[0:1]
	v_and_b32_e32 v109, 1, v146
	v_lshlrev_b32_e32 v11, 4, v109
	global_load_dwordx4 v[96:99], v11, s[8:9]
	s_movk_i32 s0, 0x7c
	s_movk_i32 s1, 0xfc
	;; [unrolled: 1-line block ×6, first 2 shown]
	v_and_or_b32 v11, v100, s0, v109
	v_and_or_b32 v14, v101, s1, v109
	;; [unrolled: 1-line block ×10, first 2 shown]
	v_lshl_add_u32 v136, v11, 3, 0
	v_lshl_add_u32 v137, v14, 3, 0
	v_lshl_add_u32 v138, v15, 3, 0
	v_lshl_add_u32 v139, v18, 3, 0
	v_lshl_add_u32 v140, v19, 3, 0
	v_lshl_add_u32 v141, v22, 3, 0
	v_lshl_add_u32 v142, v23, 3, 0
	v_lshl_add_u32 v143, v6, 3, 0
	v_lshl_add_u32 v144, v7, 3, 0
	v_lshl_add_u32 v145, v10, 3, 0
	s_waitcnt lgkmcnt(0)
	; wave barrier
	s_waitcnt vmcnt(0) lgkmcnt(0)
	v_mul_f64 v[6:7], v[80:81], v[98:99]
	v_mul_f64 v[10:11], v[82:83], v[98:99]
	;; [unrolled: 1-line block ×11, first 2 shown]
	v_fma_f64 v[6:7], v[24:25], v[96:97], v[6:7]
	v_fma_f64 v[10:11], v[26:27], v[96:97], v[10:11]
	v_fma_f64 v[14:15], v[34:35], v[96:97], v[14:15]
	v_fma_f64 v[18:19], v[40:41], v[96:97], v[18:19]
	v_fma_f64 v[52:53], v[42:43], v[96:97], v[52:53]
	v_fma_f64 v[22:23], v[28:29], v[96:97], v[22:23]
	v_fma_f64 v[44:45], v[30:31], v[96:97], v[44:45]
	v_fma_f64 v[48:49], v[36:37], v[96:97], v[48:49]
	v_fma_f64 v[64:65], v[2:3], v[96:97], v[64:65]
	v_fma_f64 v[56:57], v[38:39], v[96:97], v[56:57]
	v_fma_f64 v[60:61], v[32:33], v[96:97], v[60:61]
	v_add_f64 v[6:7], v[8:9], -v[6:7]
	v_add_f64 v[66:67], v[12:13], -v[10:11]
	;; [unrolled: 1-line block ×11, first 2 shown]
	v_fma_f64 v[52:53], v[8:9], 2.0, -v[6:7]
	v_fma_f64 v[60:61], v[12:13], 2.0, -v[66:67]
	;; [unrolled: 1-line block ×11, first 2 shown]
	v_lshlrev_b32_e32 v0, 1, v150
	ds_write2_b64 v136, v[52:53], v[6:7] offset1:2
	ds_write2_b64 v137, v[60:61], v[66:67] offset1:2
	;; [unrolled: 1-line block ×10, first 2 shown]
	s_and_saveexec_b64 s[0:1], s[2:3]
	s_cbranch_execz .LBB0_25
; %bb.24:
	s_movk_i32 s4, 0x47c
	v_and_or_b32 v1, v0, s4, v109
	v_lshl_add_u32 v1, v1, 3, 0
	ds_write2_b64 v1, v[20:21], v[22:23] offset1:2
.LBB0_25:
	s_or_b64 exec, exec, s[0:1]
	v_add_u32_e32 v48, 0x800, v149
	v_add_u32_e32 v45, 0xc00, v149
	;; [unrolled: 1-line block ×4, first 2 shown]
	s_waitcnt lgkmcnt(0)
	; wave barrier
	s_waitcnt lgkmcnt(0)
	ds_read2_b64 v[4:7], v149 offset1:84
	ds_read2_b64 v[68:71], v149 offset0:168 offset1:252
	ds_read2_b64 v[64:67], v48 offset0:80 offset1:164
	;; [unrolled: 1-line block ×5, first 2 shown]
	ds_read_b64 v[120:121], v149 offset:8064
	v_cmp_gt_u32_e64 s[0:1], 32, v146
                                        ; implicit-def: $vgpr46_vgpr47
                                        ; implicit-def: $vgpr50_vgpr51
	s_and_saveexec_b64 s[4:5], s[0:1]
	s_cbranch_execz .LBB0_27
; %bb.26:
	ds_read_b64 v[112:113], v152
	ds_read2_b64 v[8:11], v149 offset0:136 offset1:220
	ds_read2_b64 v[12:15], v48 offset0:48 offset1:132
	;; [unrolled: 1-line block ×5, first 2 shown]
	v_add_u32_e32 v1, 0x1c00, v149
	ds_read2_b64 v[44:47], v1 offset0:80 offset1:164
.LBB0_27:
	s_or_b64 exec, exec, s[4:5]
	v_mul_f64 v[24:25], v[24:25], v[98:99]
	v_mul_f64 v[26:27], v[26:27], v[98:99]
	;; [unrolled: 1-line block ×8, first 2 shown]
	v_fma_f64 v[24:25], v[80:81], v[96:97], -v[24:25]
	v_fma_f64 v[26:27], v[82:83], v[96:97], -v[26:27]
	;; [unrolled: 1-line block ×3, first 2 shown]
	v_mul_f64 v[42:43], v[42:43], v[98:99]
	v_mul_f64 v[1:2], v[2:3], v[98:99]
	;; [unrolled: 1-line block ×3, first 2 shown]
	v_fma_f64 v[30:31], v[86:87], v[96:97], -v[30:31]
	v_fma_f64 v[38:39], v[94:95], v[96:97], -v[38:39]
	v_add_f64 v[80:81], v[126:127], -v[24:25]
	v_add_f64 v[82:83], v[128:129], -v[26:27]
	;; [unrolled: 1-line block ×3, first 2 shown]
	v_fma_f64 v[24:25], v[76:77], v[96:97], -v[32:33]
	v_fma_f64 v[26:27], v[78:79], v[96:97], -v[34:35]
	v_fma_f64 v[28:29], v[88:89], v[96:97], -v[40:41]
	v_fma_f64 v[32:33], v[90:91], v[96:97], -v[42:43]
	v_fma_f64 v[1:2], v[74:75], v[96:97], -v[1:2]
	v_fma_f64 v[36:37], v[92:93], v[96:97], -v[36:37]
	v_add_f64 v[76:77], v[114:115], -v[30:31]
	v_add_f64 v[86:87], v[118:119], -v[38:39]
	;; [unrolled: 1-line block ×8, first 2 shown]
	v_fma_f64 v[40:41], v[126:127], 2.0, -v[80:81]
	v_fma_f64 v[42:43], v[128:129], 2.0, -v[82:83]
	;; [unrolled: 1-line block ×11, first 2 shown]
	s_waitcnt lgkmcnt(0)
	; wave barrier
	s_waitcnt lgkmcnt(0)
	ds_write2_b64 v136, v[40:41], v[80:81] offset1:2
	ds_write2_b64 v137, v[42:43], v[82:83] offset1:2
	;; [unrolled: 1-line block ×10, first 2 shown]
	s_and_saveexec_b64 s[4:5], s[2:3]
	s_cbranch_execz .LBB0_29
; %bb.28:
	s_movk_i32 s2, 0x47c
	v_and_or_b32 v0, v0, s2, v109
	v_lshl_add_u32 v0, v0, 3, 0
	ds_write2_b64 v0, v[36:37], v[38:39] offset1:2
.LBB0_29:
	s_or_b64 exec, exec, s[4:5]
	v_add_u32_e32 v73, 0x800, v149
	v_add_u32_e32 v72, 0xc00, v149
	v_add_u32_e32 v41, 0x1000, v149
	v_add_u32_e32 v40, 0x1800, v149
	s_waitcnt lgkmcnt(0)
	; wave barrier
	s_waitcnt lgkmcnt(0)
	ds_read2_b64 v[0:3], v149 offset1:84
	ds_read2_b64 v[92:95], v149 offset0:168 offset1:252
	ds_read2_b64 v[88:91], v73 offset0:80 offset1:164
	;; [unrolled: 1-line block ×5, first 2 shown]
	ds_read_b64 v[144:145], v149 offset:8064
                                        ; implicit-def: $vgpr42_vgpr43
                                        ; implicit-def: $vgpr74_vgpr75
	s_and_saveexec_b64 s[2:3], s[0:1]
	s_cbranch_execz .LBB0_31
; %bb.30:
	ds_read_b64 v[96:97], v152
	ds_read2_b64 v[24:27], v149 offset0:136 offset1:220
	ds_read2_b64 v[28:31], v73 offset0:48 offset1:132
	;; [unrolled: 1-line block ×5, first 2 shown]
	v_add_u32_e32 v40, 0x1c00, v149
	ds_read2_b64 v[40:43], v40 offset0:80 offset1:164
.LBB0_31:
	s_or_b64 exec, exec, s[2:3]
	v_and_b32_e32 v109, 3, v146
	v_mul_u32_u24_e32 v98, 12, v109
	v_lshlrev_b32_e32 v98, 4, v98
	global_load_dwordx4 v[158:161], v98, s[8:9] offset:32
	global_load_dwordx4 v[162:165], v98, s[8:9] offset:48
	;; [unrolled: 1-line block ×12, first 2 shown]
	s_mov_b32 s6, 0x4267c47c
	s_mov_b32 s7, 0xbfddbe06
	;; [unrolled: 1-line block ×36, first 2 shown]
	s_waitcnt lgkmcnt(0)
	; wave barrier
	s_waitcnt vmcnt(11) lgkmcnt(0)
	v_mul_f64 v[98:99], v[2:3], v[160:161]
	v_mul_f64 v[114:115], v[6:7], v[160:161]
	s_waitcnt vmcnt(10)
	v_mul_f64 v[116:117], v[92:93], v[164:165]
	s_waitcnt vmcnt(8)
	v_mul_f64 v[136:137], v[64:65], v[172:173]
	s_waitcnt vmcnt(7)
	v_mul_f64 v[142:143], v[90:91], v[176:177]
	v_mul_f64 v[118:119], v[68:69], v[164:165]
	;; [unrolled: 1-line block ×5, first 2 shown]
	s_waitcnt vmcnt(6)
	v_mul_f64 v[208:209], v[84:85], v[180:181]
	s_waitcnt vmcnt(2)
	v_mul_f64 v[226:227], v[52:53], v[196:197]
	;; [unrolled: 2-line block ×3, first 2 shown]
	v_mul_f64 v[234:235], v[120:121], v[204:205]
	v_mul_f64 v[230:231], v[54:55], v[200:201]
	;; [unrolled: 1-line block ×3, first 2 shown]
	v_fma_f64 v[138:139], v[6:7], v[158:159], v[98:99]
	v_fma_f64 v[140:141], v[2:3], v[158:159], -v[114:115]
	v_fma_f64 v[114:115], v[88:89], v[170:171], -v[136:137]
	v_fma_f64 v[88:89], v[66:67], v[174:175], v[142:143]
	v_fma_f64 v[142:143], v[120:121], v[202:203], v[232:233]
	v_fma_f64 v[120:121], v[144:145], v[202:203], -v[234:235]
	v_mul_f64 v[206:207], v[66:67], v[176:177]
	v_mul_f64 v[210:211], v[60:61], v[180:181]
	;; [unrolled: 1-line block ×10, first 2 shown]
	v_fma_f64 v[134:135], v[68:69], v[162:163], v[116:117]
	v_fma_f64 v[128:129], v[92:93], v[162:163], -v[118:119]
	v_fma_f64 v[130:131], v[70:71], v[166:167], v[122:123]
	v_fma_f64 v[126:127], v[94:95], v[166:167], -v[124:125]
	v_fma_f64 v[2:3], v[60:61], v[178:179], v[208:209]
	v_add_f64 v[60:61], v[4:5], v[138:139]
	v_fma_f64 v[124:125], v[76:77], v[194:195], -v[226:227]
	v_fma_f64 v[122:123], v[78:79], v[198:199], -v[230:231]
	v_fma_f64 v[76:77], v[10:11], v[162:163], v[238:239]
	v_add_f64 v[10:11], v[140:141], -v[120:121]
	v_mul_f64 v[216:217], v[80:81], v[188:189]
	v_mul_f64 v[218:219], v[56:57], v[188:189]
	;; [unrolled: 1-line block ×12, first 2 shown]
	v_fma_f64 v[98:99], v[64:65], v[170:171], v[132:133]
	v_fma_f64 v[116:117], v[58:59], v[190:191], v[220:221]
	;; [unrolled: 1-line block ×3, first 2 shown]
	v_add_f64 v[52:53], v[60:61], v[134:135]
	v_fma_f64 v[136:137], v[54:55], v[198:199], v[228:229]
	v_fma_f64 v[66:67], v[12:13], v[166:167], v[240:241]
	;; [unrolled: 1-line block ×3, first 2 shown]
	v_fma_f64 v[58:59], v[32:33], v[174:175], -v[176:177]
	v_fma_f64 v[32:33], v[18:19], v[178:179], v[246:247]
	v_add_f64 v[12:13], v[138:139], v[142:143]
	v_add_f64 v[16:17], v[128:129], -v[122:123]
	v_mul_f64 v[18:19], v[10:11], s[6:7]
	v_mul_f64 v[212:213], v[86:87], v[184:185]
	;; [unrolled: 1-line block ×12, first 2 shown]
	v_fma_f64 v[92:93], v[90:91], v[174:175], -v[206:207]
	v_fma_f64 v[90:91], v[56:57], v[186:187], v[216:217]
	v_fma_f64 v[94:95], v[80:81], v[186:187], -v[218:219]
	v_fma_f64 v[118:119], v[82:83], v[190:191], -v[222:223]
	v_fma_f64 v[80:81], v[8:9], v[158:159], v[236:237]
	v_fma_f64 v[82:83], v[24:25], v[158:159], -v[160:161]
	v_add_f64 v[8:9], v[52:53], v[130:131]
	v_fma_f64 v[78:79], v[26:27], v[162:163], -v[164:165]
	v_fma_f64 v[68:69], v[28:29], v[166:167], -v[168:169]
	v_fma_f64 v[60:61], v[14:15], v[170:171], v[242:243]
	v_fma_f64 v[52:53], v[34:35], v[178:179], -v[180:181]
	v_fma_f64 v[34:35], v[20:21], v[182:183], v[248:249]
	v_fma_f64 v[56:57], v[22:23], v[186:187], v[250:251]
	v_fma_f64 v[70:71], v[74:75], v[194:195], -v[196:197]
	v_add_f64 v[14:15], v[134:135], v[136:137]
	v_mul_f64 v[20:21], v[10:11], s[2:3]
	v_mul_f64 v[22:23], v[10:11], s[4:5]
	;; [unrolled: 1-line block ×6, first 2 shown]
	v_fma_f64 v[74:75], v[12:13], s[18:19], v[18:19]
	v_fma_f64 v[18:19], v[12:13], s[18:19], -v[18:19]
	v_fma_f64 v[6:7], v[62:63], v[182:183], v[212:213]
	v_fma_f64 v[62:63], v[30:31], v[170:171], -v[172:173]
	v_fma_f64 v[64:65], v[72:73], v[190:191], -v[192:193]
	v_fma_f64 v[72:73], v[44:45], v[198:199], v[110:111]
	v_fma_f64 v[44:45], v[40:41], v[198:199], -v[200:201]
	v_fma_f64 v[46:47], v[46:47], v[202:203], v[147:148]
	v_fma_f64 v[40:41], v[42:43], v[202:203], -v[204:205]
	v_mul_f64 v[30:31], v[16:17], s[20:21]
	v_mul_f64 v[42:43], v[16:17], s[28:29]
	v_fma_f64 v[110:111], v[12:13], s[10:11], v[20:21]
	v_fma_f64 v[20:21], v[12:13], s[10:11], -v[20:21]
	v_fma_f64 v[144:145], v[12:13], s[16:17], v[22:23]
	v_fma_f64 v[22:23], v[12:13], s[16:17], -v[22:23]
	;; [unrolled: 2-line block ×6, first 2 shown]
	v_add_f64 v[74:75], v[4:5], v[74:75]
	v_add_f64 v[18:19], v[4:5], v[18:19]
	;; [unrolled: 1-line block ×14, first 2 shown]
	v_fma_f64 v[18:19], v[14:15], s[22:23], v[30:31]
	v_fma_f64 v[28:29], v[14:15], s[22:23], -v[30:31]
	v_fma_f64 v[30:31], v[14:15], s[30:31], v[42:43]
	v_mul_f64 v[74:75], v[16:17], s[34:35]
	v_mul_f64 v[162:163], v[16:17], s[36:37]
	;; [unrolled: 1-line block ×3, first 2 shown]
	v_add_f64 v[164:165], v[130:131], v[132:133]
	v_add_f64 v[8:9], v[8:9], v[98:99]
	;; [unrolled: 1-line block ×5, first 2 shown]
	v_fma_f64 v[30:31], v[14:15], s[30:31], -v[42:43]
	v_fma_f64 v[42:43], v[14:15], s[26:27], v[74:75]
	v_add_f64 v[110:111], v[126:127], -v[124:125]
	v_fma_f64 v[74:75], v[14:15], s[26:27], -v[74:75]
	v_fma_f64 v[144:145], v[14:15], s[16:17], v[162:163]
	v_fma_f64 v[162:163], v[14:15], s[16:17], -v[162:163]
	v_add_f64 v[8:9], v[8:9], v[88:89]
	v_fma_f64 v[84:85], v[84:85], v[178:179], -v[210:211]
	v_add_f64 v[22:23], v[30:31], v[22:23]
	v_add_f64 v[30:31], v[42:43], v[147:148]
	v_mul_f64 v[166:167], v[110:111], s[4:5]
	v_add_f64 v[24:25], v[74:75], v[24:25]
	v_add_f64 v[42:43], v[144:145], v[158:159]
	v_fma_f64 v[74:75], v[14:15], s[18:19], v[16:17]
	v_fma_f64 v[14:15], v[14:15], s[18:19], -v[16:17]
	v_mul_f64 v[144:145], v[110:111], s[28:29]
	v_mul_f64 v[158:159], v[110:111], s[38:39]
	v_add_f64 v[26:27], v[162:163], v[26:27]
	v_fma_f64 v[16:17], v[164:165], s[16:17], v[166:167]
	v_fma_f64 v[147:148], v[164:165], s[16:17], -v[166:167]
	v_add_f64 v[8:9], v[8:9], v[2:3]
	v_add_f64 v[74:75], v[74:75], v[160:161]
	;; [unrolled: 1-line block ×3, first 2 shown]
	v_mul_f64 v[14:15], v[110:111], s[40:41]
	v_fma_f64 v[160:161], v[164:165], s[30:31], v[144:145]
	v_fma_f64 v[144:145], v[164:165], s[30:31], -v[144:145]
	v_add_f64 v[10:11], v[16:17], v[10:11]
	v_add_f64 v[12:13], v[147:148], v[12:13]
	v_fma_f64 v[16:17], v[164:165], s[22:23], v[158:159]
	v_fma_f64 v[147:148], v[164:165], s[22:23], -v[158:159]
	v_mul_f64 v[158:159], v[110:111], s[2:3]
	v_fma_f64 v[162:163], v[164:165], s[18:19], v[14:15]
	v_fma_f64 v[14:15], v[164:165], s[18:19], -v[14:15]
	v_add_f64 v[20:21], v[144:145], v[20:21]
	v_add_f64 v[144:145], v[114:115], -v[118:119]
	v_mul_f64 v[110:111], v[110:111], s[24:25]
	v_add_f64 v[18:19], v[160:161], v[18:19]
	v_add_f64 v[16:17], v[16:17], v[28:29]
	;; [unrolled: 1-line block ×3, first 2 shown]
	v_fma_f64 v[28:29], v[164:165], s[10:11], v[158:159]
	v_add_f64 v[147:148], v[98:99], v[116:117]
	v_add_f64 v[14:15], v[14:15], v[24:25]
	v_mul_f64 v[160:161], v[144:145], s[20:21]
	v_fma_f64 v[24:25], v[164:165], s[10:11], -v[158:159]
	v_mul_f64 v[158:159], v[144:145], s[34:35]
	v_add_f64 v[30:31], v[162:163], v[30:31]
	v_fma_f64 v[162:163], v[164:165], s[26:27], v[110:111]
	v_fma_f64 v[110:111], v[164:165], s[26:27], -v[110:111]
	v_add_f64 v[28:29], v[28:29], v[42:43]
	v_mul_f64 v[42:43], v[144:145], s[40:41]
	v_fma_f64 v[164:165], v[147:148], s[22:23], v[160:161]
	v_fma_f64 v[160:161], v[147:148], s[22:23], -v[160:161]
	v_add_f64 v[24:25], v[24:25], v[26:27]
	v_fma_f64 v[26:27], v[147:148], s[26:27], v[158:159]
	v_fma_f64 v[158:159], v[147:148], s[26:27], -v[158:159]
	v_add_f64 v[4:5], v[110:111], v[4:5]
	v_mul_f64 v[110:111], v[144:145], s[4:5]
	v_fma_f64 v[166:167], v[147:148], s[18:19], v[42:43]
	v_add_f64 v[74:75], v[162:163], v[74:75]
	v_add_f64 v[12:13], v[160:161], v[12:13]
	v_add_f64 v[160:161], v[92:93], -v[94:95]
	v_add_f64 v[18:19], v[26:27], v[18:19]
	v_fma_f64 v[26:27], v[147:148], s[18:19], -v[42:43]
	v_mul_f64 v[42:43], v[144:145], s[44:45]
	v_add_f64 v[20:21], v[158:159], v[20:21]
	v_fma_f64 v[158:159], v[147:148], s[16:17], v[110:111]
	v_fma_f64 v[110:111], v[147:148], s[16:17], -v[110:111]
	v_mul_f64 v[144:145], v[144:145], s[42:43]
	v_add_f64 v[10:11], v[164:165], v[10:11]
	v_add_f64 v[162:163], v[88:89], v[90:91]
	;; [unrolled: 1-line block ×3, first 2 shown]
	v_fma_f64 v[26:27], v[147:148], s[30:31], v[42:43]
	v_mul_f64 v[164:165], v[160:161], s[24:25]
	v_add_f64 v[30:31], v[158:159], v[30:31]
	v_fma_f64 v[42:43], v[147:148], s[30:31], -v[42:43]
	v_add_f64 v[14:15], v[110:111], v[14:15]
	v_fma_f64 v[110:111], v[147:148], s[10:11], v[144:145]
	v_mul_f64 v[158:159], v[160:161], s[36:37]
	v_fma_f64 v[144:145], v[147:148], s[10:11], -v[144:145]
	v_add_f64 v[26:27], v[26:27], v[28:29]
	v_fma_f64 v[28:29], v[162:163], s[26:27], v[164:165]
	v_mul_f64 v[147:148], v[160:161], s[2:3]
	v_fma_f64 v[86:87], v[86:87], v[182:183], -v[214:215]
	v_add_f64 v[24:25], v[42:43], v[24:25]
	v_fma_f64 v[42:43], v[162:163], s[26:27], -v[164:165]
	v_add_f64 v[74:75], v[110:111], v[74:75]
	v_fma_f64 v[110:111], v[162:163], s[16:17], v[158:159]
	v_add_f64 v[4:5], v[144:145], v[4:5]
	v_fma_f64 v[144:145], v[162:163], s[16:17], -v[158:159]
	v_add_f64 v[16:17], v[166:167], v[16:17]
	v_add_f64 v[10:11], v[28:29], v[10:11]
	v_fma_f64 v[28:29], v[162:163], s[10:11], v[147:148]
	v_mul_f64 v[158:159], v[160:161], s[44:45]
	v_add_f64 v[8:9], v[8:9], v[6:7]
	v_add_f64 v[12:13], v[42:43], v[12:13]
	v_fma_f64 v[42:43], v[162:163], s[10:11], -v[147:148]
	v_add_f64 v[18:19], v[110:111], v[18:19]
	v_mul_f64 v[110:111], v[160:161], s[40:41]
	v_add_f64 v[20:21], v[144:145], v[20:21]
	v_add_f64 v[144:145], v[84:85], -v[86:87]
	v_add_f64 v[16:17], v[28:29], v[16:17]
	v_fma_f64 v[28:29], v[162:163], s[30:31], v[158:159]
	v_mul_f64 v[147:148], v[160:161], s[20:21]
	v_add_f64 v[8:9], v[8:9], v[90:91]
	v_add_f64 v[22:23], v[42:43], v[22:23]
	v_fma_f64 v[42:43], v[162:163], s[30:31], -v[158:159]
	v_fma_f64 v[158:159], v[162:163], s[18:19], v[110:111]
	v_add_f64 v[160:161], v[2:3], v[6:7]
	v_mul_f64 v[164:165], v[144:145], s[28:29]
	v_fma_f64 v[110:111], v[162:163], s[18:19], -v[110:111]
	v_add_f64 v[28:29], v[28:29], v[30:31]
	v_fma_f64 v[30:31], v[162:163], s[22:23], v[147:148]
	v_mul_f64 v[166:167], v[144:145], s[40:41]
	v_add_f64 v[8:9], v[8:9], v[116:117]
	v_fma_f64 v[147:148], v[162:163], s[22:23], -v[147:148]
	v_add_f64 v[14:15], v[42:43], v[14:15]
	v_fma_f64 v[42:43], v[160:161], s[30:31], v[164:165]
	v_add_f64 v[24:25], v[110:111], v[24:25]
	v_fma_f64 v[110:111], v[160:161], s[30:31], -v[164:165]
	v_add_f64 v[30:31], v[30:31], v[74:75]
	v_fma_f64 v[74:75], v[160:161], s[18:19], v[166:167]
	v_add_f64 v[8:9], v[8:9], v[132:133]
	v_add_f64 v[26:27], v[158:159], v[26:27]
	v_mul_f64 v[158:159], v[144:145], s[24:25]
	v_add_f64 v[4:5], v[147:148], v[4:5]
	v_fma_f64 v[147:148], v[160:161], s[18:19], -v[166:167]
	v_add_f64 v[10:11], v[42:43], v[10:11]
	v_mul_f64 v[42:43], v[144:145], s[42:43]
	v_add_f64 v[12:13], v[110:111], v[12:13]
	v_mul_f64 v[110:111], v[144:145], s[20:21]
	v_add_f64 v[18:19], v[74:75], v[18:19]
	v_mul_f64 v[74:75], v[144:145], s[36:37]
	v_add_f64 v[8:9], v[8:9], v[136:137]
	v_fma_f64 v[144:145], v[160:161], s[26:27], v[158:159]
	v_add_f64 v[20:21], v[147:148], v[20:21]
	v_fma_f64 v[147:148], v[160:161], s[26:27], -v[158:159]
	v_fma_f64 v[158:159], v[160:161], s[10:11], v[42:43]
	v_fma_f64 v[162:163], v[160:161], s[22:23], v[110:111]
	v_fma_f64 v[42:43], v[160:161], s[10:11], -v[42:43]
	v_fma_f64 v[164:165], v[160:161], s[16:17], v[74:75]
	v_fma_f64 v[74:75], v[160:161], s[16:17], -v[74:75]
	v_fma_f64 v[110:111], v[160:161], s[22:23], -v[110:111]
	;; [unrolled: 1-line block ×4, first 2 shown]
	v_fma_f64 v[48:49], v[48:49], v[190:191], v[252:253]
	v_fma_f64 v[50:51], v[50:51], v[194:195], v[254:255]
	v_add_f64 v[8:9], v[8:9], v[142:143]
	v_add_f64 v[16:17], v[144:145], v[16:17]
	;; [unrolled: 1-line block ×8, first 2 shown]
	v_lshrrev_b32_e32 v42, 2, v146
	v_add_f64 v[22:23], v[147:148], v[22:23]
	v_mul_u32_u24_e32 v42, 52, v42
	v_or_b32_e32 v42, v42, v109
	v_lshl_add_u32 v145, v42, 3, 0
	v_lshrrev_b32_e32 v144, 2, v157
	ds_write2_b64 v145, v[8:9], v[10:11] offset1:4
	ds_write2_b64 v145, v[18:19], v[16:17] offset0:8 offset1:12
	ds_write2_b64 v145, v[28:29], v[26:27] offset0:16 offset1:20
	;; [unrolled: 1-line block ×5, first 2 shown]
	ds_write_b64 v145, v[12:13] offset:384
	s_and_saveexec_b64 s[46:47], s[0:1]
	s_cbranch_execz .LBB0_33
; %bb.32:
	v_add_f64 v[4:5], v[82:83], -v[40:41]
	v_add_f64 v[18:19], v[78:79], -v[44:45]
	v_add_f64 v[20:21], v[80:81], v[46:47]
	v_add_f64 v[26:27], v[68:69], -v[70:71]
	v_add_f64 v[30:31], v[76:77], v[72:73]
	;; [unrolled: 2-line block ×3, first 2 shown]
	v_add_f64 v[16:17], v[60:61], v[48:49]
	v_mul_f64 v[22:23], v[4:5], s[28:29]
	v_mul_f64 v[110:111], v[18:19], s[40:41]
	;; [unrolled: 1-line block ×6, first 2 shown]
	v_add_f64 v[14:15], v[58:59], -v[38:39]
	v_mul_f64 v[171:172], v[26:27], s[2:3]
	v_fma_f64 v[147:148], v[20:21], s[30:31], -v[22:23]
	v_fma_f64 v[22:23], v[20:21], s[30:31], v[22:23]
	v_fma_f64 v[167:168], v[30:31], s[18:19], -v[110:111]
	v_fma_f64 v[110:111], v[30:31], s[18:19], v[110:111]
	v_fma_f64 v[177:178], v[28:29], s[26:27], -v[159:160]
	v_fma_f64 v[159:160], v[28:29], s[26:27], v[159:160]
	v_fma_f64 v[181:182], v[16:17], s[10:11], -v[157:158]
	v_add_f64 v[10:11], v[52:53], -v[36:37]
	v_add_f64 v[147:148], v[112:113], v[147:148]
	v_add_f64 v[22:23], v[112:113], v[22:23]
	;; [unrolled: 1-line block ×3, first 2 shown]
	v_mul_f64 v[74:75], v[14:15], s[20:21]
	v_mul_f64 v[165:166], v[24:25], s[44:45]
	;; [unrolled: 1-line block ×3, first 2 shown]
	v_fma_f64 v[157:158], v[16:17], s[10:11], v[157:158]
	v_add_f64 v[8:9], v[32:33], v[34:35]
	v_add_f64 v[147:148], v[167:168], v[147:148]
	v_fma_f64 v[167:168], v[20:21], s[26:27], -v[169:170]
	v_add_f64 v[22:23], v[110:111], v[22:23]
	v_fma_f64 v[169:170], v[20:21], s[26:27], v[169:170]
	v_mul_f64 v[42:43], v[10:11], s[36:37]
	v_mul_f64 v[110:111], v[18:19], s[34:35]
	v_fma_f64 v[183:184], v[12:13], s[22:23], -v[74:75]
	v_fma_f64 v[74:75], v[12:13], s[22:23], v[74:75]
	v_add_f64 v[147:148], v[177:178], v[147:148]
	v_fma_f64 v[177:178], v[30:31], s[16:17], -v[173:174]
	v_add_f64 v[167:168], v[112:113], v[167:168]
	v_add_f64 v[22:23], v[159:160], v[22:23]
	;; [unrolled: 1-line block ×3, first 2 shown]
	v_mul_f64 v[163:164], v[14:15], s[40:41]
	v_mul_f64 v[175:176], v[26:27], s[40:41]
	v_fma_f64 v[159:160], v[8:9], s[16:17], -v[42:43]
	v_add_f64 v[147:148], v[181:182], v[147:148]
	v_fma_f64 v[181:182], v[28:29], s[10:11], -v[171:172]
	v_add_f64 v[167:168], v[177:178], v[167:168]
	v_add_f64 v[22:23], v[157:158], v[22:23]
	v_fma_f64 v[157:158], v[30:31], s[16:17], v[173:174]
	v_fma_f64 v[173:174], v[20:21], s[22:23], -v[179:180]
	v_fma_f64 v[177:178], v[16:17], s[30:31], -v[165:166]
	v_fma_f64 v[42:43], v[8:9], s[16:17], v[42:43]
	v_add_f64 v[147:148], v[183:184], v[147:148]
	v_mul_f64 v[161:162], v[10:11], s[20:21]
	v_add_f64 v[167:168], v[181:182], v[167:168]
	v_add_f64 v[22:23], v[74:75], v[22:23]
	v_fma_f64 v[74:75], v[28:29], s[10:11], v[171:172]
	v_fma_f64 v[171:172], v[30:31], s[26:27], -v[110:111]
	v_add_f64 v[173:174], v[112:113], v[173:174]
	v_add_f64 v[157:158], v[157:158], v[169:170]
	;; [unrolled: 1-line block ×3, first 2 shown]
	v_fma_f64 v[159:160], v[12:13], s[18:19], -v[163:164]
	v_add_f64 v[167:168], v[177:178], v[167:168]
	v_fma_f64 v[177:178], v[20:21], s[22:23], v[179:180]
	v_add_f64 v[22:23], v[42:43], v[22:23]
	v_fma_f64 v[42:43], v[16:17], s[30:31], v[165:166]
	v_mul_f64 v[165:166], v[24:25], s[4:5]
	v_fma_f64 v[169:170], v[28:29], s[18:19], -v[175:176]
	v_add_f64 v[171:172], v[171:172], v[173:174]
	v_add_f64 v[74:75], v[74:75], v[157:158]
	v_fma_f64 v[110:111], v[30:31], s[26:27], v[110:111]
	v_add_f64 v[177:178], v[112:113], v[177:178]
	v_fma_f64 v[157:158], v[8:9], s[22:23], -v[161:162]
	v_add_f64 v[159:160], v[159:160], v[167:168]
	v_fma_f64 v[163:164], v[12:13], s[18:19], v[163:164]
	v_mul_f64 v[167:168], v[14:15], s[44:45]
	v_fma_f64 v[173:174], v[16:17], s[16:17], -v[165:166]
	v_add_f64 v[169:170], v[169:170], v[171:172]
	v_add_f64 v[42:43], v[42:43], v[74:75]
	v_mul_f64 v[171:172], v[4:5], s[4:5]
	v_fma_f64 v[175:176], v[28:29], s[18:19], v[175:176]
	v_add_f64 v[110:111], v[110:111], v[177:178]
	v_fma_f64 v[74:75], v[8:9], s[22:23], v[161:162]
	v_mul_f64 v[161:162], v[10:11], s[42:43]
	v_fma_f64 v[179:180], v[12:13], s[30:31], -v[167:168]
	v_add_f64 v[169:170], v[173:174], v[169:170]
	v_add_f64 v[42:43], v[163:164], v[42:43]
	;; [unrolled: 1-line block ×3, first 2 shown]
	v_mul_f64 v[159:160], v[18:19], s[28:29]
	v_fma_f64 v[163:164], v[20:21], s[16:17], -v[171:172]
	v_fma_f64 v[165:166], v[16:17], s[16:17], v[165:166]
	v_fma_f64 v[171:172], v[20:21], s[16:17], v[171:172]
	v_add_f64 v[110:111], v[175:176], v[110:111]
	v_fma_f64 v[173:174], v[8:9], s[10:11], -v[161:162]
	v_add_f64 v[169:170], v[179:180], v[169:170]
	v_add_f64 v[42:43], v[74:75], v[42:43]
	v_mul_f64 v[74:75], v[26:27], s[38:39]
	v_fma_f64 v[177:178], v[30:31], s[30:31], -v[159:160]
	v_add_f64 v[163:164], v[112:113], v[163:164]
	v_fma_f64 v[159:160], v[30:31], s[30:31], v[159:160]
	v_add_f64 v[171:172], v[112:113], v[171:172]
	v_add_f64 v[110:111], v[165:166], v[110:111]
	;; [unrolled: 1-line block ×4, first 2 shown]
	v_fma_f64 v[167:168], v[12:13], s[30:31], v[167:168]
	v_mul_f64 v[173:174], v[24:25], s[40:41]
	v_fma_f64 v[175:176], v[28:29], s[22:23], -v[74:75]
	v_add_f64 v[163:164], v[177:178], v[163:164]
	v_fma_f64 v[74:75], v[28:29], s[22:23], v[74:75]
	v_add_f64 v[159:160], v[159:160], v[171:172]
	v_add_f64 v[165:166], v[165:166], v[76:77]
	v_fma_f64 v[161:162], v[8:9], s[10:11], v[161:162]
	v_mul_f64 v[177:178], v[14:15], s[2:3]
	v_fma_f64 v[179:180], v[16:17], s[18:19], -v[173:174]
	v_add_f64 v[110:111], v[167:168], v[110:111]
	v_add_f64 v[163:164], v[175:176], v[163:164]
	v_mul_f64 v[171:172], v[4:5], s[2:3]
	v_add_f64 v[74:75], v[74:75], v[159:160]
	v_add_f64 v[159:160], v[165:166], v[66:67]
	v_fma_f64 v[173:174], v[16:17], s[18:19], v[173:174]
	v_fma_f64 v[175:176], v[12:13], s[10:11], -v[177:178]
	v_mul_f64 v[4:5], v[4:5], s[6:7]
	v_add_f64 v[110:111], v[161:162], v[110:111]
	v_add_f64 v[163:164], v[179:180], v[163:164]
	v_mul_f64 v[161:162], v[18:19], s[20:21]
	v_fma_f64 v[165:166], v[20:21], s[10:11], -v[171:172]
	v_add_f64 v[159:160], v[159:160], v[60:61]
	v_add_f64 v[74:75], v[173:174], v[74:75]
	v_mul_f64 v[173:174], v[26:27], s[28:29]
	v_mul_f64 v[18:19], v[18:19], s[2:3]
	v_fma_f64 v[189:190], v[20:21], s[18:19], v[4:5]
	v_add_f64 v[163:164], v[175:176], v[163:164]
	v_fma_f64 v[175:176], v[12:13], s[10:11], v[177:178]
	v_fma_f64 v[177:178], v[30:31], s[22:23], -v[161:162]
	v_add_f64 v[165:166], v[112:113], v[165:166]
	v_add_f64 v[159:160], v[159:160], v[54:55]
	v_fma_f64 v[171:172], v[20:21], s[10:11], v[171:172]
	v_fma_f64 v[4:5], v[20:21], s[18:19], -v[4:5]
	v_mul_f64 v[26:27], v[26:27], s[4:5]
	v_fma_f64 v[20:21], v[30:31], s[10:11], v[18:19]
	v_add_f64 v[74:75], v[175:176], v[74:75]
	v_fma_f64 v[175:176], v[28:29], s[30:31], -v[173:174]
	v_add_f64 v[165:166], v[177:178], v[165:166]
	v_add_f64 v[159:160], v[159:160], v[32:33]
	v_fma_f64 v[161:162], v[30:31], s[22:23], v[161:162]
	v_add_f64 v[171:172], v[112:113], v[171:172]
	v_fma_f64 v[18:19], v[30:31], s[10:11], -v[18:19]
	v_add_f64 v[4:5], v[112:113], v[4:5]
	v_mul_f64 v[183:184], v[24:25], s[34:35]
	v_mul_f64 v[24:25], v[24:25], s[20:21]
	v_add_f64 v[165:166], v[175:176], v[165:166]
	v_add_f64 v[175:176], v[112:113], v[189:190]
	;; [unrolled: 1-line block ×3, first 2 shown]
	v_fma_f64 v[30:31], v[28:29], s[16:17], v[26:27]
	v_fma_f64 v[173:174], v[28:29], s[30:31], v[173:174]
	v_fma_f64 v[26:27], v[28:29], s[16:17], -v[26:27]
	v_add_f64 v[4:5], v[18:19], v[4:5]
	v_mul_f64 v[181:182], v[14:15], s[36:37]
	v_mul_f64 v[14:15], v[14:15], s[24:25]
	v_add_f64 v[20:21], v[20:21], v[175:176]
	v_add_f64 v[112:113], v[159:160], v[56:57]
	;; [unrolled: 1-line block ×3, first 2 shown]
	v_fma_f64 v[18:19], v[16:17], s[22:23], v[24:25]
	v_fma_f64 v[161:162], v[16:17], s[26:27], v[183:184]
	v_fma_f64 v[187:188], v[16:17], s[26:27], -v[183:184]
	v_fma_f64 v[16:17], v[16:17], s[22:23], -v[24:25]
	v_add_f64 v[4:5], v[26:27], v[4:5]
	v_add_f64 v[20:21], v[30:31], v[20:21]
	;; [unrolled: 1-line block ×4, first 2 shown]
	v_mul_f64 v[167:168], v[10:11], s[24:25]
	v_mul_f64 v[177:178], v[10:11], s[40:41]
	;; [unrolled: 1-line block ×3, first 2 shown]
	v_fma_f64 v[24:25], v[12:13], s[26:27], v[14:15]
	v_fma_f64 v[112:113], v[12:13], s[16:17], v[181:182]
	v_add_f64 v[18:19], v[18:19], v[20:21]
	v_add_f64 v[20:21], v[28:29], v[50:51]
	;; [unrolled: 1-line block ×3, first 2 shown]
	v_fma_f64 v[185:186], v[12:13], s[16:17], -v[181:182]
	v_add_f64 v[28:29], v[187:188], v[165:166]
	v_fma_f64 v[12:13], v[12:13], s[26:27], -v[14:15]
	v_add_f64 v[4:5], v[16:17], v[4:5]
	v_fma_f64 v[14:15], v[8:9], s[30:31], v[10:11]
	v_add_f64 v[16:17], v[24:25], v[18:19]
	v_add_f64 v[18:19], v[20:21], v[72:73]
	v_fma_f64 v[179:180], v[8:9], s[26:27], -v[167:168]
	v_fma_f64 v[167:168], v[8:9], s[26:27], v[167:168]
	v_fma_f64 v[30:31], v[8:9], s[18:19], v[177:178]
	v_add_f64 v[20:21], v[112:113], v[26:27]
	v_fma_f64 v[24:25], v[8:9], s[18:19], -v[177:178]
	v_add_f64 v[26:27], v[185:186], v[28:29]
	v_fma_f64 v[8:9], v[8:9], s[30:31], -v[10:11]
	v_add_f64 v[4:5], v[12:13], v[4:5]
	v_add_f64 v[12:13], v[14:15], v[16:17]
	;; [unrolled: 1-line block ×5, first 2 shown]
	v_mul_lo_u32 v28, v144, 52
	v_add_f64 v[18:19], v[179:180], v[163:164]
	v_add_f64 v[20:21], v[24:25], v[26:27]
	;; [unrolled: 1-line block ×3, first 2 shown]
	v_or_b32_e32 v8, v28, v109
	v_lshl_add_u32 v8, v8, 3, 0
	ds_write2_b64 v8, v[14:15], v[12:13] offset1:4
	ds_write2_b64 v8, v[16:17], v[10:11] offset0:8 offset1:12
	ds_write2_b64 v8, v[110:111], v[42:43] offset0:16 offset1:20
	;; [unrolled: 1-line block ×5, first 2 shown]
	ds_write_b64 v8, v[4:5] offset:384
.LBB0_33:
	s_or_b64 exec, exec, s[46:47]
	v_add_f64 v[4:5], v[0:1], v[140:141]
	v_add_f64 v[8:9], v[140:141], v[120:121]
	v_add_f64 v[10:11], v[138:139], -v[142:143]
	v_add_f64 v[12:13], v[128:129], v[122:123]
	v_add_f64 v[14:15], v[134:135], -v[136:137]
	;; [unrolled: 2-line block ×3, first 2 shown]
	v_add_f64 v[98:99], v[98:99], -v[116:117]
	v_add_f64 v[4:5], v[4:5], v[128:129]
	v_mul_f64 v[20:21], v[8:9], s[18:19]
	v_mul_f64 v[22:23], v[8:9], s[10:11]
	;; [unrolled: 1-line block ×7, first 2 shown]
	v_add_f64 v[4:5], v[4:5], v[126:127]
	v_mul_f64 v[42:43], v[12:13], s[22:23]
	v_fma_f64 v[134:135], v[10:11], s[40:41], v[20:21]
	v_fma_f64 v[20:21], v[10:11], s[6:7], v[20:21]
	;; [unrolled: 1-line block ×4, first 2 shown]
	v_mul_f64 v[74:75], v[12:13], s[30:31]
	v_mul_f64 v[110:111], v[12:13], s[26:27]
	v_add_f64 v[4:5], v[4:5], v[114:115]
	v_mul_f64 v[112:113], v[12:13], s[16:17]
	v_mul_f64 v[12:13], v[12:13], s[18:19]
	;; [unrolled: 1-line block ×4, first 2 shown]
	v_fma_f64 v[138:139], v[10:11], s[36:37], v[24:25]
	v_fma_f64 v[24:25], v[10:11], s[4:5], v[24:25]
	;; [unrolled: 1-line block ×3, first 2 shown]
	v_add_f64 v[4:5], v[4:5], v[92:93]
	v_fma_f64 v[26:27], v[10:11], s[20:21], v[26:27]
	v_fma_f64 v[142:143], v[10:11], s[34:35], v[28:29]
	;; [unrolled: 1-line block ×7, first 2 shown]
	v_add_f64 v[4:5], v[4:5], v[84:85]
	v_fma_f64 v[157:158], v[14:15], s[38:39], v[42:43]
	v_fma_f64 v[42:43], v[14:15], s[20:21], v[42:43]
	v_add_f64 v[134:135], v[0:1], v[134:135]
	v_add_f64 v[20:21], v[0:1], v[20:21]
	;; [unrolled: 1-line block ×4, first 2 shown]
	v_mul_f64 v[130:131], v[16:17], s[22:23]
	v_add_f64 v[4:5], v[4:5], v[86:87]
	v_fma_f64 v[159:160], v[14:15], s[44:45], v[74:75]
	v_fma_f64 v[74:75], v[14:15], s[28:29], v[74:75]
	;; [unrolled: 1-line block ×7, first 2 shown]
	v_add_f64 v[4:5], v[4:5], v[94:95]
	v_fma_f64 v[12:13], v[14:15], s[40:41], v[12:13]
	v_fma_f64 v[14:15], v[18:19], s[36:37], v[126:127]
	;; [unrolled: 1-line block ×4, first 2 shown]
	v_add_f64 v[138:139], v[0:1], v[138:139]
	v_add_f64 v[24:25], v[0:1], v[24:25]
	;; [unrolled: 1-line block ×14, first 2 shown]
	v_mul_f64 v[132:133], v[16:17], s[18:19]
	v_add_f64 v[24:25], v[74:75], v[24:25]
	v_add_f64 v[28:29], v[112:113], v[28:29]
	;; [unrolled: 1-line block ×6, first 2 shown]
	v_mul_f64 v[14:15], v[16:17], s[10:11]
	v_add_f64 v[20:21], v[128:129], v[22:23]
	v_add_f64 v[22:23], v[114:115], v[118:119]
	;; [unrolled: 1-line block ×4, first 2 shown]
	v_fma_f64 v[114:115], v[18:19], s[6:7], v[132:133]
	v_add_f64 v[112:113], v[4:5], v[120:121]
	v_fma_f64 v[4:5], v[18:19], s[38:39], v[130:131]
	v_fma_f64 v[118:119], v[18:19], s[40:41], v[132:133]
	v_mul_f64 v[16:17], v[16:17], s[26:27]
	v_add_f64 v[74:75], v[163:164], v[142:143]
	v_mul_f64 v[116:117], v[22:23], s[22:23]
	v_fma_f64 v[126:127], v[18:19], s[4:5], v[126:127]
	v_add_f64 v[42:43], v[114:115], v[42:43]
	v_mul_f64 v[114:115], v[22:23], s[26:27]
	v_add_f64 v[4:5], v[4:5], v[24:25]
	v_fma_f64 v[24:25], v[18:19], s[42:43], v[14:15]
	v_fma_f64 v[14:15], v[18:19], s[2:3], v[14:15]
	v_add_f64 v[26:27], v[118:119], v[26:27]
	v_fma_f64 v[118:119], v[18:19], s[34:35], v[16:17]
	v_fma_f64 v[16:17], v[18:19], s[24:25], v[16:17]
	;; [unrolled: 1-line block ×3, first 2 shown]
	v_add_f64 v[10:11], v[126:127], v[10:11]
	v_add_f64 v[30:31], v[159:160], v[138:139]
	;; [unrolled: 1-line block ×3, first 2 shown]
	v_fma_f64 v[24:25], v[98:99], s[38:39], v[116:117]
	v_add_f64 v[14:15], v[14:15], v[28:29]
	v_mul_f64 v[28:29], v[22:23], s[18:19]
	v_fma_f64 v[74:75], v[98:99], s[20:21], v[116:117]
	v_add_f64 v[0:1], v[16:17], v[0:1]
	v_fma_f64 v[16:17], v[98:99], s[34:35], v[114:115]
	v_fma_f64 v[116:117], v[98:99], s[24:25], v[114:115]
	v_add_f64 v[88:89], v[88:89], -v[90:91]
	v_add_f64 v[8:9], v[24:25], v[8:9]
	v_mul_f64 v[24:25], v[22:23], s[16:17]
	v_fma_f64 v[114:115], v[98:99], s[6:7], v[28:29]
	v_add_f64 v[10:11], v[74:75], v[10:11]
	v_fma_f64 v[28:29], v[98:99], s[40:41], v[28:29]
	v_mul_f64 v[74:75], v[22:23], s[30:31]
	v_add_f64 v[16:17], v[16:17], v[20:21]
	v_add_f64 v[20:21], v[92:93], v[94:95]
	v_mul_f64 v[22:23], v[22:23], s[10:11]
	v_fma_f64 v[92:93], v[98:99], s[36:37], v[24:25]
	v_fma_f64 v[24:25], v[98:99], s[4:5], v[24:25]
	v_add_f64 v[30:31], v[169:170], v[30:31]
	v_add_f64 v[4:5], v[28:29], v[4:5]
	v_fma_f64 v[28:29], v[98:99], s[28:29], v[74:75]
	v_fma_f64 v[74:75], v[98:99], s[44:45], v[74:75]
	v_mul_f64 v[90:91], v[20:21], s[26:27]
	v_mul_f64 v[94:95], v[20:21], s[10:11]
	v_add_f64 v[42:43], v[92:93], v[42:43]
	v_add_f64 v[24:25], v[24:25], v[26:27]
	v_fma_f64 v[26:27], v[98:99], s[2:3], v[22:23]
	v_mul_f64 v[92:93], v[20:21], s[16:17]
	v_fma_f64 v[22:23], v[98:99], s[42:43], v[22:23]
	v_add_f64 v[18:19], v[28:29], v[18:19]
	v_fma_f64 v[28:29], v[88:89], s[34:35], v[90:91]
	v_add_f64 v[14:15], v[74:75], v[14:15]
	;; [unrolled: 2-line block ×3, first 2 shown]
	v_add_f64 v[12:13], v[116:117], v[12:13]
	v_add_f64 v[30:31], v[114:115], v[30:31]
	;; [unrolled: 1-line block ×3, first 2 shown]
	v_fma_f64 v[22:23], v[88:89], s[36:37], v[92:93]
	v_fma_f64 v[90:91], v[88:89], s[4:5], v[92:93]
	v_add_f64 v[8:9], v[28:29], v[8:9]
	v_fma_f64 v[28:29], v[88:89], s[42:43], v[94:95]
	v_mul_f64 v[92:93], v[20:21], s[30:31]
	v_add_f64 v[10:11], v[74:75], v[10:11]
	v_fma_f64 v[74:75], v[88:89], s[2:3], v[94:95]
	v_add_f64 v[110:111], v[118:119], v[110:111]
	v_add_f64 v[16:17], v[22:23], v[16:17]
	;; [unrolled: 1-line block ×4, first 2 shown]
	v_mul_f64 v[90:91], v[20:21], s[18:19]
	v_add_f64 v[28:29], v[28:29], v[30:31]
	v_fma_f64 v[30:31], v[88:89], s[28:29], v[92:93]
	v_mul_f64 v[20:21], v[20:21], s[22:23]
	v_add_f64 v[4:5], v[74:75], v[4:5]
	v_fma_f64 v[74:75], v[88:89], s[44:45], v[92:93]
	v_add_f64 v[2:3], v[2:3], -v[6:7]
	v_mul_f64 v[6:7], v[22:23], s[30:31]
	v_add_f64 v[26:27], v[26:27], v[110:111]
	v_fma_f64 v[84:85], v[88:89], s[6:7], v[90:91]
	v_fma_f64 v[86:87], v[88:89], s[40:41], v[90:91]
	v_add_f64 v[30:31], v[30:31], v[42:43]
	v_fma_f64 v[42:43], v[88:89], s[38:39], v[20:21]
	v_mul_f64 v[90:91], v[22:23], s[18:19]
	v_fma_f64 v[20:21], v[88:89], s[20:21], v[20:21]
	v_add_f64 v[24:25], v[74:75], v[24:25]
	v_fma_f64 v[74:75], v[2:3], s[44:45], v[6:7]
	v_fma_f64 v[6:7], v[2:3], s[28:29], v[6:7]
	v_add_f64 v[18:19], v[84:85], v[18:19]
	v_mul_f64 v[84:85], v[22:23], s[26:27]
	v_add_f64 v[26:27], v[42:43], v[26:27]
	v_fma_f64 v[42:43], v[2:3], s[6:7], v[90:91]
	v_add_f64 v[0:1], v[20:21], v[0:1]
	v_fma_f64 v[20:21], v[2:3], s[40:41], v[90:91]
	v_add_f64 v[98:99], v[74:75], v[8:9]
	v_mul_f64 v[8:9], v[22:23], s[10:11]
	v_add_f64 v[110:111], v[6:7], v[10:11]
	v_mul_f64 v[6:7], v[22:23], s[22:23]
	v_mul_f64 v[10:11], v[22:23], s[16:17]
	v_add_f64 v[114:115], v[42:43], v[12:13]
	v_fma_f64 v[12:13], v[2:3], s[34:35], v[84:85]
	v_add_f64 v[14:15], v[86:87], v[14:15]
	v_add_f64 v[116:117], v[20:21], v[16:17]
	v_fma_f64 v[16:17], v[2:3], s[24:25], v[84:85]
	v_fma_f64 v[20:21], v[2:3], s[2:3], v[8:9]
	;; [unrolled: 1-line block ×7, first 2 shown]
	v_add_f64 v[118:119], v[12:13], v[28:29]
	v_add_u32_e32 v90, 0x1000, v149
	v_add_u32_e32 v92, 0x1800, v149
	;; [unrolled: 1-line block ×5, first 2 shown]
	v_add_f64 v[120:121], v[16:17], v[4:5]
	v_add_f64 v[122:123], v[20:21], v[30:31]
	;; [unrolled: 1-line block ×7, first 2 shown]
	s_waitcnt lgkmcnt(0)
	; wave barrier
	s_waitcnt lgkmcnt(0)
	ds_read2_b64 v[4:7], v149 offset1:208
	ds_read_b64 v[86:87], v156
	ds_read_b64 v[84:85], v103
	ds_read2_b64 v[12:15], v90 offset0:60 offset1:112
	ds_read2_b64 v[28:31], v92 offset0:12 offset1:64
	;; [unrolled: 1-line block ×3, first 2 shown]
	ds_read_b64 v[74:75], v152
	ds_read2_b64 v[20:23], v91 offset0:4 offset1:108
	ds_read2_b64 v[24:27], v93 offset0:32 offset1:136
	;; [unrolled: 1-line block ×4, first 2 shown]
	ds_read_b64 v[88:89], v153
	ds_read_b64 v[42:43], v105
	s_waitcnt lgkmcnt(0)
	; wave barrier
	s_waitcnt lgkmcnt(0)
	ds_write2_b64 v145, v[112:113], v[98:99] offset1:4
	ds_write2_b64 v145, v[114:115], v[118:119] offset0:8 offset1:12
	ds_write2_b64 v145, v[122:123], v[126:127] offset0:16 offset1:20
	ds_write2_b64 v145, v[130:131], v[132:133] offset0:24 offset1:28
	ds_write2_b64 v145, v[128:129], v[124:125] offset0:32 offset1:36
	ds_write2_b64 v145, v[120:121], v[116:117] offset0:40 offset1:44
	ds_write_b64 v145, v[110:111] offset:384
	s_and_saveexec_b64 s[2:3], s[0:1]
	s_cbranch_execz .LBB0_35
; %bb.34:
	v_add_f64 v[98:99], v[96:97], v[82:83]
	v_add_f64 v[46:47], v[80:81], -v[46:47]
	v_add_f64 v[72:73], v[76:77], -v[72:73]
	v_add_f64 v[82:83], v[82:83], v[40:41]
	s_mov_b32 s10, 0xe00740e9
	s_mov_b32 s11, 0x3fec55a7
	;; [unrolled: 1-line block ×4, first 2 shown]
	v_add_f64 v[80:81], v[98:99], v[78:79]
	v_add_f64 v[78:79], v[78:79], v[44:45]
	s_mov_b32 s22, 0xebaa3ed8
	s_mov_b32 s30, 0xb2365da1
	;; [unrolled: 1-line block ×6, first 2 shown]
	v_add_f64 v[80:81], v[80:81], v[68:69]
	s_mov_b32 s23, 0x3fbedb7d
	s_mov_b32 s31, 0xbfd6b1d8
	;; [unrolled: 1-line block ×4, first 2 shown]
	v_mul_f64 v[98:99], v[82:83], s[16:17]
	v_mul_f64 v[110:111], v[82:83], s[22:23]
	;; [unrolled: 1-line block ×3, first 2 shown]
	v_add_f64 v[80:81], v[80:81], v[62:63]
	v_mul_f64 v[114:115], v[82:83], s[38:39]
	v_mul_f64 v[116:117], v[78:79], s[16:17]
	s_mov_b32 s0, 0x42a4c3d2
	s_mov_b32 s20, 0x66966769
	;; [unrolled: 1-line block ×5, first 2 shown]
	v_add_f64 v[80:81], v[80:81], v[58:59]
	s_mov_b32 s19, 0xbfddbe06
	s_mov_b32 s1, 0x3fea55e2
	;; [unrolled: 1-line block ×7, first 2 shown]
	v_add_f64 v[76:77], v[80:81], v[52:53]
	v_mul_f64 v[80:81], v[82:83], s[10:11]
	v_mul_f64 v[82:83], v[82:83], s[44:45]
	s_mov_b32 s37, 0x3fe5384d
	s_mov_b32 s35, 0xbfe5384d
	;; [unrolled: 1-line block ×5, first 2 shown]
	v_add_f64 v[76:77], v[76:77], v[36:37]
	v_fma_f64 v[124:125], v[46:47], s[4:5], v[80:81]
	s_mov_b32 s6, s0
	s_mov_b32 s24, s20
	;; [unrolled: 1-line block ×5, first 2 shown]
	v_mul_f64 v[118:119], v[78:79], s[30:31]
	v_add_f64 v[76:77], v[76:77], v[38:39]
	v_mul_f64 v[120:121], v[78:79], s[44:45]
	v_mul_f64 v[122:123], v[78:79], s[38:39]
	v_fma_f64 v[80:81], v[46:47], s[18:19], v[80:81]
	v_fma_f64 v[126:127], v[46:47], s[0:1], v[98:99]
	;; [unrolled: 1-line block ×5, first 2 shown]
	v_add_f64 v[76:77], v[76:77], v[64:65]
	v_fma_f64 v[130:131], v[46:47], s[26:27], v[112:113]
	v_fma_f64 v[112:113], v[46:47], s[28:29], v[112:113]
	;; [unrolled: 1-line block ×7, first 2 shown]
	v_add_f64 v[76:77], v[76:77], v[70:71]
	v_add_f64 v[124:125], v[96:97], v[124:125]
	v_fma_f64 v[136:137], v[72:73], s[26:27], v[118:119]
	v_add_f64 v[80:81], v[96:97], v[80:81]
	v_add_f64 v[126:127], v[96:97], v[126:127]
	;; [unrolled: 1-line block ×14, first 2 shown]
	v_fma_f64 v[44:45], v[72:73], s[28:29], v[118:119]
	v_fma_f64 v[95:96], v[72:73], s[42:43], v[120:121]
	;; [unrolled: 1-line block ×4, first 2 shown]
	v_mul_f64 v[124:125], v[78:79], s[22:23]
	v_add_f64 v[68:69], v[68:69], v[70:71]
	v_fma_f64 v[116:117], v[72:73], s[6:7], v[116:117]
	v_mul_f64 v[78:79], v[78:79], s[10:11]
	v_add_f64 v[44:45], v[44:45], v[98:99]
	v_add_f64 v[70:71], v[95:96], v[128:129]
	v_fma_f64 v[95:96], v[72:73], s[36:37], v[122:123]
	v_add_f64 v[76:77], v[118:119], v[76:77]
	v_add_f64 v[97:98], v[120:121], v[110:111]
	v_fma_f64 v[110:111], v[72:73], s[24:25], v[124:125]
	v_add_f64 v[50:51], v[66:67], -v[50:51]
	v_mul_f64 v[66:67], v[68:69], s[22:23]
	v_fma_f64 v[118:119], v[72:73], s[20:21], v[124:125]
	v_mul_f64 v[120:121], v[68:69], s[44:45]
	v_add_f64 v[80:81], v[116:117], v[80:81]
	v_add_f64 v[116:117], v[136:137], v[126:127]
	;; [unrolled: 1-line block ×3, first 2 shown]
	v_fma_f64 v[112:113], v[72:73], s[18:19], v[78:79]
	v_fma_f64 v[72:73], v[72:73], s[4:5], v[78:79]
	v_add_f64 v[78:79], v[110:111], v[130:131]
	v_mul_f64 v[110:111], v[68:69], s[30:31]
	v_fma_f64 v[122:123], v[50:51], s[20:21], v[66:67]
	v_add_f64 v[114:115], v[118:119], v[114:115]
	v_fma_f64 v[66:67], v[50:51], s[24:25], v[66:67]
	v_fma_f64 v[118:119], v[50:51], s[42:43], v[120:121]
	v_add_f64 v[62:63], v[62:63], v[64:65]
	v_add_f64 v[46:47], v[72:73], v[46:47]
	v_fma_f64 v[72:73], v[50:51], s[40:41], v[120:121]
	v_fma_f64 v[120:121], v[50:51], s[28:29], v[110:111]
	v_add_f64 v[82:83], v[122:123], v[82:83]
	v_mul_f64 v[122:123], v[68:69], s[10:11]
	v_add_f64 v[66:67], v[66:67], v[80:81]
	v_fma_f64 v[80:81], v[50:51], s[26:27], v[110:111]
	v_add_f64 v[110:111], v[118:119], v[116:117]
	v_mul_f64 v[116:117], v[68:69], s[16:17]
	v_add_f64 v[44:45], v[72:73], v[44:45]
	v_mul_f64 v[68:69], v[68:69], s[38:39]
	v_add_f64 v[48:49], v[60:61], -v[48:49]
	v_fma_f64 v[64:65], v[50:51], s[18:19], v[122:123]
	v_fma_f64 v[72:73], v[50:51], s[4:5], v[122:123]
	v_add_f64 v[76:77], v[80:81], v[76:77]
	v_mul_f64 v[60:61], v[62:63], s[30:31]
	v_fma_f64 v[80:81], v[50:51], s[0:1], v[116:117]
	v_fma_f64 v[116:117], v[50:51], s[6:7], v[116:117]
	v_add_f64 v[112:113], v[112:113], v[132:133]
	v_add_f64 v[70:71], v[120:121], v[70:71]
	;; [unrolled: 1-line block ×4, first 2 shown]
	v_mul_f64 v[95:96], v[62:63], s[38:39]
	v_fma_f64 v[97:98], v[50:51], s[36:37], v[68:69]
	v_add_f64 v[78:79], v[80:81], v[78:79]
	v_fma_f64 v[50:51], v[50:51], s[34:35], v[68:69]
	v_add_f64 v[68:69], v[116:117], v[114:115]
	v_fma_f64 v[80:81], v[48:49], s[26:27], v[60:61]
	v_fma_f64 v[60:61], v[48:49], s[28:29], v[60:61]
	v_mul_f64 v[114:115], v[62:63], s[10:11]
	v_fma_f64 v[116:117], v[48:49], s[34:35], v[95:96]
	v_add_f64 v[97:98], v[97:98], v[112:113]
	v_mul_f64 v[112:113], v[62:63], s[22:23]
	v_add_f64 v[46:47], v[50:51], v[46:47]
	v_fma_f64 v[50:51], v[48:49], s[36:37], v[95:96]
	v_add_f64 v[38:39], v[58:59], v[38:39]
	v_add_f64 v[60:61], v[60:61], v[66:67]
	v_fma_f64 v[66:67], v[48:49], s[18:19], v[114:115]
	v_fma_f64 v[95:96], v[48:49], s[4:5], v[114:115]
	v_mul_f64 v[114:115], v[62:63], s[44:45]
	v_mul_f64 v[62:63], v[62:63], s[16:17]
	v_add_f64 v[54:55], v[54:55], -v[56:57]
	v_add_f64 v[44:45], v[50:51], v[44:45]
	v_fma_f64 v[50:51], v[48:49], s[24:25], v[112:113]
	v_mul_f64 v[56:57], v[38:39], s[38:39]
	v_add_f64 v[58:59], v[66:67], v[70:71]
	v_add_f64 v[80:81], v[80:81], v[82:83]
	v_fma_f64 v[70:71], v[48:49], s[40:41], v[114:115]
	v_add_f64 v[82:83], v[116:117], v[110:111]
	v_fma_f64 v[110:111], v[48:49], s[20:21], v[112:113]
	v_add_f64 v[66:67], v[95:96], v[76:77]
	v_add_f64 v[50:51], v[50:51], v[72:73]
	v_fma_f64 v[72:73], v[48:49], s[42:43], v[114:115]
	v_fma_f64 v[76:77], v[48:49], s[6:7], v[62:63]
	v_mul_f64 v[95:96], v[38:39], s[22:23]
	v_fma_f64 v[48:49], v[48:49], s[0:1], v[62:63]
	v_add_f64 v[62:63], v[70:71], v[78:79]
	v_mul_f64 v[70:71], v[38:39], s[16:17]
	v_fma_f64 v[78:79], v[54:55], s[36:37], v[56:57]
	v_fma_f64 v[56:57], v[54:55], s[34:35], v[56:57]
	v_add_f64 v[68:69], v[72:73], v[68:69]
	v_add_f64 v[72:73], v[76:77], v[97:98]
	v_fma_f64 v[76:77], v[54:55], s[24:25], v[95:96]
	v_add_f64 v[46:47], v[48:49], v[46:47]
	v_fma_f64 v[48:49], v[54:55], s[20:21], v[95:96]
	v_fma_f64 v[95:96], v[54:55], s[0:1], v[70:71]
	v_add_f64 v[78:79], v[78:79], v[80:81]
	v_add_f64 v[56:57], v[56:57], v[60:61]
	v_fma_f64 v[60:61], v[54:55], s[6:7], v[70:71]
	v_mul_f64 v[70:71], v[38:39], s[44:45]
	v_mul_f64 v[80:81], v[38:39], s[10:11]
	v_add_f64 v[36:37], v[52:53], v[36:37]
	v_mul_f64 v[38:39], v[38:39], s[30:31]
	v_add_f64 v[64:65], v[110:111], v[64:65]
	v_add_f64 v[44:45], v[48:49], v[44:45]
	;; [unrolled: 1-line block ×4, first 2 shown]
	v_fma_f64 v[58:59], v[54:55], s[40:41], v[70:71]
	v_fma_f64 v[60:61], v[54:55], s[42:43], v[70:71]
	;; [unrolled: 1-line block ×4, first 2 shown]
	v_add_f64 v[32:33], v[32:33], -v[34:35]
	v_mul_f64 v[34:35], v[36:37], s[44:45]
	v_fma_f64 v[80:81], v[54:55], s[26:27], v[38:39]
	v_fma_f64 v[38:39], v[54:55], s[28:29], v[38:39]
	v_add_f64 v[54:55], v[58:59], v[64:65]
	v_mul_f64 v[58:59], v[36:37], s[10:11]
	v_add_f64 v[76:77], v[76:77], v[82:83]
	v_add_f64 v[50:51], v[60:61], v[50:51]
	;; [unrolled: 1-line block ×3, first 2 shown]
	v_fma_f64 v[64:65], v[32:33], s[42:43], v[34:35]
	v_add_f64 v[62:63], v[70:71], v[68:69]
	v_add_f64 v[38:39], v[38:39], v[46:47]
	v_mul_f64 v[46:47], v[36:37], s[38:39]
	v_add_f64 v[66:67], v[80:81], v[72:73]
	v_fma_f64 v[34:35], v[32:33], s[40:41], v[34:35]
	v_fma_f64 v[68:69], v[32:33], s[18:19], v[58:59]
	;; [unrolled: 1-line block ×3, first 2 shown]
	v_mul_f64 v[70:71], v[36:37], s[16:17]
	v_mul_f64 v[72:73], v[36:37], s[30:31]
	;; [unrolled: 1-line block ×3, first 2 shown]
	v_add_f64 v[64:65], v[64:65], v[78:79]
	v_fma_f64 v[78:79], v[32:33], s[36:37], v[46:47]
	v_add_f64 v[34:35], v[34:35], v[56:57]
	v_add_f64 v[56:57], v[68:69], v[76:77]
	;; [unrolled: 1-line block ×3, first 2 shown]
	v_fma_f64 v[58:59], v[32:33], s[6:7], v[70:71]
	v_fma_f64 v[68:69], v[32:33], s[0:1], v[70:71]
	;; [unrolled: 1-line block ×7, first 2 shown]
	v_add_f64 v[48:49], v[78:79], v[48:49]
	v_add_f64 v[46:47], v[58:59], v[54:55]
	v_add_f64 v[50:51], v[68:69], v[50:51]
	v_add_f64 v[54:55], v[70:71], v[60:61]
	v_mul_lo_u32 v60, v144, 52
	v_add_f64 v[58:59], v[76:77], v[66:67]
	v_add_f64 v[36:37], v[36:37], v[38:39]
	;; [unrolled: 1-line block ×4, first 2 shown]
	v_or_b32_e32 v52, v60, v109
	v_lshl_add_u32 v52, v52, 3, 0
	ds_write2_b64 v52, v[40:41], v[64:65] offset1:4
	ds_write2_b64 v52, v[56:57], v[48:49] offset0:8 offset1:12
	ds_write2_b64 v52, v[46:47], v[54:55] offset0:16 offset1:20
	;; [unrolled: 1-line block ×5, first 2 shown]
	ds_write_b64 v52, v[34:35] offset:384
.LBB0_35:
	s_or_b64 exec, exec, s[2:3]
	v_mul_u32_u24_e32 v32, 6, v146
	v_lshlrev_b32_e32 v40, 4, v32
	s_waitcnt lgkmcnt(0)
	; wave barrier
	s_waitcnt lgkmcnt(0)
	global_load_dwordx4 v[32:35], v40, s[8:9] offset:800
	global_load_dwordx4 v[36:39], v40, s[8:9] offset:816
	;; [unrolled: 1-line block ×6, first 2 shown]
	s_movk_i32 s0, 0x4f
	v_mul_lo_u16_sdwa v40, v151, s0 dst_sel:DWORD dst_unused:UNUSED_PAD src0_sel:BYTE_0 src1_sel:DWORD
	v_lshrrev_b16_e32 v40, 12, v40
	v_mul_lo_u16_e32 v40, 52, v40
	v_sub_u16_e32 v40, v151, v40
	v_and_b32_e32 v99, 0xff, v40
	v_mul_u32_u24_e32 v40, 6, v99
	v_lshlrev_b32_e32 v40, 4, v40
	global_load_dwordx4 v[60:63], v40, s[8:9] offset:800
	global_load_dwordx4 v[64:67], v40, s[8:9] offset:816
	;; [unrolled: 1-line block ×6, first 2 shown]
	ds_read2_b64 v[112:115], v149 offset1:208
	ds_read_b64 v[40:41], v156
	ds_read_b64 v[72:73], v103
	ds_read2_b64 v[116:119], v90 offset0:60 offset1:112
	ds_read2_b64 v[120:123], v92 offset0:12 offset1:64
	;; [unrolled: 1-line block ×3, first 2 shown]
	ds_read_b64 v[109:110], v152
	ds_read2_b64 v[128:131], v91 offset0:4 offset1:108
	ds_read_b64 v[144:145], v153
	ds_read2_b64 v[132:135], v93 offset0:32 offset1:136
	ds_read2_b64 v[136:139], v90 offset0:164 offset1:216
	;; [unrolled: 1-line block ×3, first 2 shown]
	ds_read_b64 v[93:94], v105
	s_mov_b32 s2, 0x37e14327
	s_mov_b32 s0, 0x36b3c0b5
	s_mov_b32 s6, 0xe976ee23
	s_mov_b32 s4, 0x429ad128
	s_mov_b32 s3, 0x3fe948f6
	s_mov_b32 s1, 0x3fac98ee
	s_mov_b32 s7, 0x3fe11646
	s_mov_b32 s5, 0xbfebfeb5
	s_mov_b32 s10, 0xaaaaaaaa
	s_mov_b32 s16, 0x5476071b
	s_mov_b32 s20, 0xb247c609
	s_mov_b32 s11, 0xbff2aaaa
	s_mov_b32 s17, 0x3fe77f67
	s_mov_b32 s19, 0xbfe77f67
	s_mov_b32 s18, s16
	s_mov_b32 s21, 0xbfd5d0dc
	s_mov_b32 s25, 0x3fd5d0dc
	s_mov_b32 s24, s20
	s_mov_b32 s22, 0x37c3f68c
	s_mov_b32 s23, 0xbfdc38aa
	s_waitcnt lgkmcnt(0)
	; wave barrier
	s_waitcnt vmcnt(11) lgkmcnt(0)
	v_mul_f64 v[147:148], v[144:145], v[34:35]
	v_mul_f64 v[157:158], v[88:89], v[34:35]
	s_waitcnt vmcnt(10)
	v_mul_f64 v[159:160], v[40:41], v[38:39]
	v_mul_f64 v[161:162], v[86:87], v[38:39]
	s_waitcnt vmcnt(7)
	;; [unrolled: 3-line block ×3, first 2 shown]
	v_mul_f64 v[175:176], v[126:127], v[58:59]
	v_mul_f64 v[177:178], v[10:11], v[58:59]
	;; [unrolled: 1-line block ×16, first 2 shown]
	s_waitcnt vmcnt(5)
	v_mul_f64 v[191:192], v[128:129], v[62:63]
	v_mul_f64 v[62:63], v[20:21], v[62:63]
	s_waitcnt vmcnt(4)
	v_mul_f64 v[193:194], v[132:133], v[66:67]
	v_mul_f64 v[66:67], v[24:25], v[66:67]
	;; [unrolled: 3-line block ×3, first 2 shown]
	v_fma_f64 v[88:89], v[88:89], v[32:33], v[147:148]
	v_fma_f64 v[144:145], v[144:145], v[32:33], -v[157:158]
	v_fma_f64 v[86:87], v[86:87], v[36:37], v[159:160]
	v_fma_f64 v[40:41], v[40:41], v[36:37], -v[161:162]
	;; [unrolled: 2-line block ×4, first 2 shown]
	v_mul_f64 v[189:190], v[140:141], v[58:59]
	v_mul_f64 v[58:59], v[0:1], v[58:59]
	s_waitcnt vmcnt(2)
	v_mul_f64 v[197:198], v[138:139], v[78:79]
	v_mul_f64 v[78:79], v[18:19], v[78:79]
	s_waitcnt vmcnt(1)
	v_mul_f64 v[199:200], v[124:125], v[82:83]
	v_mul_f64 v[82:83], v[8:9], v[82:83]
	v_fma_f64 v[84:85], v[84:85], v[44:45], v[163:164]
	v_fma_f64 v[72:73], v[72:73], v[44:45], -v[165:166]
	v_fma_f64 v[14:15], v[14:15], v[48:49], v[167:168]
	v_fma_f64 v[118:119], v[118:119], v[48:49], -v[169:170]
	v_fma_f64 v[6:7], v[6:7], v[32:33], v[179:180]
	v_fma_f64 v[32:33], v[114:115], v[32:33], -v[34:35]
	v_fma_f64 v[22:23], v[22:23], v[36:37], v[181:182]
	v_fma_f64 v[34:35], v[130:131], v[36:37], -v[38:39]
	v_fma_f64 v[26:27], v[26:27], v[44:45], v[183:184]
	v_fma_f64 v[36:37], v[134:135], v[44:45], -v[46:47]
	v_fma_f64 v[16:17], v[16:17], v[48:49], v[185:186]
	v_fma_f64 v[38:39], v[136:137], v[48:49], -v[50:51]
	v_fma_f64 v[30:31], v[30:31], v[52:53], v[187:188]
	v_fma_f64 v[44:45], v[122:123], v[52:53], -v[54:55]
	v_fma_f64 v[48:49], v[128:129], v[60:61], -v[62:63]
	v_fma_f64 v[24:25], v[24:25], v[64:65], v[193:194]
	v_fma_f64 v[50:51], v[132:133], v[64:65], -v[66:67]
	v_fma_f64 v[12:13], v[12:13], v[68:69], v[195:196]
	v_fma_f64 v[52:53], v[116:117], v[68:69], -v[70:71]
	v_add_f64 v[62:63], v[88:89], v[10:11]
	v_add_f64 v[64:65], v[144:145], v[126:127]
	;; [unrolled: 1-line block ×4, first 2 shown]
	v_fma_f64 v[0:1], v[0:1], v[56:57], v[189:190]
	v_fma_f64 v[46:47], v[140:141], v[56:57], -v[58:59]
	v_fma_f64 v[18:19], v[18:19], v[76:77], v[197:198]
	v_fma_f64 v[54:55], v[138:139], v[76:77], -v[78:79]
	;; [unrolled: 2-line block ×3, first 2 shown]
	v_add_f64 v[10:11], v[88:89], -v[10:11]
	v_add_f64 v[66:67], v[144:145], -v[126:127]
	;; [unrolled: 1-line block ×4, first 2 shown]
	v_add_f64 v[76:77], v[84:85], v[14:15]
	v_add_f64 v[78:79], v[72:73], v[118:119]
	v_add_f64 v[14:15], v[14:15], -v[84:85]
	v_add_f64 v[72:73], v[118:119], -v[72:73]
	v_add_f64 v[80:81], v[68:69], v[62:63]
	v_add_f64 v[82:83], v[70:71], v[64:65]
	v_fma_f64 v[20:21], v[20:21], v[60:61], v[191:192]
	s_waitcnt vmcnt(0)
	v_mul_f64 v[58:59], v[142:143], v[97:98]
	v_mul_f64 v[60:61], v[2:3], v[97:98]
	v_add_f64 v[84:85], v[68:69], -v[62:63]
	v_add_f64 v[86:87], v[70:71], -v[64:65]
	;; [unrolled: 1-line block ×6, first 2 shown]
	v_add_f64 v[88:89], v[14:15], v[28:29]
	v_add_f64 v[97:98], v[72:73], v[40:41]
	v_add_f64 v[114:115], v[14:15], -v[28:29]
	v_add_f64 v[116:117], v[72:73], -v[40:41]
	v_add_f64 v[76:77], v[76:77], v[80:81]
	v_add_f64 v[78:79], v[78:79], v[82:83]
	v_add_f64 v[28:29], v[28:29], -v[10:11]
	v_add_f64 v[40:41], v[40:41], -v[66:67]
	;; [unrolled: 1-line block ×4, first 2 shown]
	v_add_f64 v[10:11], v[88:89], v[10:11]
	v_add_f64 v[66:67], v[97:98], v[66:67]
	;; [unrolled: 1-line block ×4, first 2 shown]
	v_mul_f64 v[62:63], v[62:63], s[2:3]
	v_mul_f64 v[64:65], v[64:65], s[2:3]
	;; [unrolled: 1-line block ×8, first 2 shown]
	v_fma_f64 v[76:77], v[76:77], s[10:11], v[4:5]
	v_fma_f64 v[78:79], v[78:79], s[10:11], v[80:81]
	v_fma_f64 v[68:69], v[68:69], s[0:1], v[62:63]
	v_fma_f64 v[70:71], v[70:71], s[0:1], v[64:65]
	v_fma_f64 v[82:83], v[84:85], s[16:17], -v[82:83]
	v_fma_f64 v[88:89], v[86:87], s[16:17], -v[88:89]
	;; [unrolled: 1-line block ×4, first 2 shown]
	v_fma_f64 v[84:85], v[14:15], s[20:21], v[97:98]
	v_fma_f64 v[86:87], v[72:73], s[20:21], v[111:112]
	v_fma_f64 v[14:15], v[14:15], s[24:25], -v[113:114]
	v_fma_f64 v[72:73], v[72:73], s[24:25], -v[115:116]
	;; [unrolled: 1-line block ×4, first 2 shown]
	v_add_f64 v[62:63], v[62:63], v[76:77]
	v_add_f64 v[64:65], v[64:65], v[78:79]
	;; [unrolled: 1-line block ×4, first 2 shown]
	v_fma_f64 v[14:15], v[10:11], s[22:23], v[14:15]
	v_fma_f64 v[72:73], v[66:67], s[22:23], v[72:73]
	v_add_f64 v[82:83], v[82:83], v[76:77]
	v_add_f64 v[88:89], v[88:89], v[78:79]
	v_fma_f64 v[76:77], v[66:67], s[22:23], v[86:87]
	v_fma_f64 v[78:79], v[10:11], s[22:23], v[84:85]
	v_fma_f64 v[40:41], v[66:67], s[22:23], v[40:41]
	v_fma_f64 v[10:11], v[10:11], s[22:23], v[28:29]
	v_add_f64 v[84:85], v[64:65], -v[14:15]
	v_add_f64 v[66:67], v[72:73], v[62:63]
	v_add_f64 v[62:63], v[62:63], -v[72:73]
	v_add_f64 v[64:65], v[14:15], v[64:65]
	v_add_f64 v[14:15], v[6:7], v[0:1]
	;; [unrolled: 1-line block ×3, first 2 shown]
	v_add_f64 v[0:1], v[6:7], -v[0:1]
	v_add_f64 v[6:7], v[32:33], -v[46:47]
	v_add_f64 v[32:33], v[22:23], v[30:31]
	v_add_f64 v[46:47], v[34:35], v[44:45]
	v_add_f64 v[22:23], v[22:23], -v[30:31]
	v_add_f64 v[30:31], v[34:35], -v[44:45]
	v_add_f64 v[34:35], v[26:27], v[16:17]
	v_add_f64 v[44:45], v[36:37], v[38:39]
	;; [unrolled: 4-line block ×3, first 2 shown]
	v_fma_f64 v[2:3], v[2:3], v[95:96], v[58:59]
	v_fma_f64 v[28:29], v[142:143], v[95:96], -v[60:61]
	v_add_f64 v[86:87], v[82:83], -v[40:41]
	v_add_f64 v[95:96], v[10:11], v[88:89]
	v_add_f64 v[40:41], v[40:41], v[82:83]
	v_add_f64 v[10:11], v[88:89], -v[10:11]
	v_add_f64 v[82:83], v[32:33], -v[14:15]
	;; [unrolled: 1-line block ×7, first 2 shown]
	v_add_f64 v[97:98], v[16:17], v[22:23]
	v_add_f64 v[111:112], v[26:27], v[30:31]
	v_add_f64 v[113:114], v[16:17], -v[22:23]
	v_add_f64 v[115:116], v[26:27], -v[30:31]
	v_add_f64 v[34:35], v[34:35], v[36:37]
	v_add_f64 v[36:37], v[44:45], v[38:39]
	v_add_f64 v[22:23], v[22:23], -v[0:1]
	v_add_f64 v[30:31], v[30:31], -v[6:7]
	;; [unrolled: 1-line block ×4, first 2 shown]
	v_add_f64 v[0:1], v[97:98], v[0:1]
	v_add_f64 v[6:7], v[111:112], v[6:7]
	;; [unrolled: 1-line block ×4, first 2 shown]
	v_mul_f64 v[14:15], v[14:15], s[2:3]
	v_mul_f64 v[44:45], v[72:73], s[2:3]
	;; [unrolled: 1-line block ×8, first 2 shown]
	v_fma_f64 v[34:35], v[34:35], s[10:11], v[38:39]
	v_fma_f64 v[36:37], v[36:37], s[10:11], v[74:75]
	;; [unrolled: 1-line block ×4, first 2 shown]
	v_fma_f64 v[72:73], v[82:83], s[16:17], -v[72:73]
	v_fma_f64 v[97:98], v[88:89], s[16:17], -v[97:98]
	;; [unrolled: 1-line block ×4, first 2 shown]
	v_fma_f64 v[82:83], v[16:17], s[20:21], v[109:110]
	v_fma_f64 v[88:89], v[26:27], s[20:21], v[111:112]
	v_fma_f64 v[22:23], v[22:23], s[4:5], -v[109:110]
	v_fma_f64 v[30:31], v[30:31], s[4:5], -v[111:112]
	;; [unrolled: 1-line block ×4, first 2 shown]
	v_add_f64 v[32:33], v[32:33], v[34:35]
	v_add_f64 v[46:47], v[46:47], v[36:37]
	;; [unrolled: 1-line block ×6, first 2 shown]
	v_fma_f64 v[36:37], v[6:7], s[22:23], v[88:89]
	v_fma_f64 v[44:45], v[0:1], s[22:23], v[82:83]
	;; [unrolled: 1-line block ×6, first 2 shown]
	v_add_f64 v[58:59], v[76:77], v[68:69]
	v_add_f64 v[60:61], v[70:71], -v[78:79]
	v_add_f64 v[22:23], v[68:69], -v[76:77]
	v_add_f64 v[68:69], v[78:79], v[70:71]
	v_add_f64 v[76:77], v[26:27], v[14:15]
	v_add_f64 v[78:79], v[34:35], -v[16:17]
	v_add_f64 v[82:83], v[72:73], -v[6:7]
	v_add_f64 v[88:89], v[0:1], v[97:98]
	v_add_f64 v[6:7], v[6:7], v[72:73]
	v_add_f64 v[72:73], v[97:98], -v[0:1]
	v_add_f64 v[0:1], v[14:15], -v[26:27]
	v_add_f64 v[97:98], v[16:17], v[34:35]
	v_add_f64 v[14:15], v[20:21], v[2:3]
	v_add_f64 v[16:17], v[48:49], v[28:29]
	v_add_f64 v[2:3], v[20:21], -v[2:3]
	v_add_f64 v[20:21], v[48:49], -v[28:29]
	v_add_f64 v[26:27], v[24:25], v[8:9]
	v_add_f64 v[28:29], v[50:51], v[56:57]
	v_add_f64 v[8:9], v[24:25], -v[8:9]
	v_add_f64 v[24:25], v[50:51], -v[56:57]
	;; [unrolled: 4-line block ×4, first 2 shown]
	v_add_f64 v[14:15], v[14:15], -v[34:35]
	v_add_f64 v[16:17], v[16:17], -v[48:49]
	;; [unrolled: 1-line block ×4, first 2 shown]
	v_add_f64 v[111:112], v[18:19], v[24:25]
	v_add_f64 v[115:116], v[18:19], -v[24:25]
	v_add_f64 v[34:35], v[34:35], v[50:51]
	v_add_f64 v[48:49], v[48:49], v[52:53]
	v_add_f64 v[24:25], v[24:25], -v[20:21]
	v_add_f64 v[109:110], v[12:13], v[8:9]
	v_add_f64 v[113:114], v[12:13], -v[8:9]
	v_add_f64 v[8:9], v[8:9], -v[2:3]
	;; [unrolled: 1-line block ×3, first 2 shown]
	v_add_f64 v[20:21], v[111:112], v[20:21]
	v_add_f64 v[42:43], v[42:43], v[34:35]
	v_add_f64 v[50:51], v[93:94], v[48:49]
	v_mul_f64 v[14:15], v[14:15], s[2:3]
	v_mul_f64 v[16:17], v[16:17], s[2:3]
	;; [unrolled: 1-line block ×6, first 2 shown]
	v_add_f64 v[12:13], v[2:3], -v[12:13]
	v_add_f64 v[2:3], v[109:110], v[2:3]
	v_mul_f64 v[109:110], v[113:114], s[6:7]
	v_mul_f64 v[113:114], v[8:9], s[4:5]
	v_fma_f64 v[34:35], v[34:35], s[10:11], v[42:43]
	v_fma_f64 v[26:27], v[26:27], s[0:1], v[14:15]
	;; [unrolled: 1-line block ×3, first 2 shown]
	v_fma_f64 v[52:53], v[54:55], s[16:17], -v[52:53]
	v_fma_f64 v[93:94], v[56:57], s[16:17], -v[93:94]
	;; [unrolled: 1-line block ×4, first 2 shown]
	v_fma_f64 v[56:57], v[18:19], s[20:21], v[111:112]
	v_fma_f64 v[24:25], v[24:25], s[4:5], -v[111:112]
	v_fma_f64 v[18:19], v[18:19], s[24:25], -v[115:116]
	v_fma_f64 v[48:49], v[48:49], s[10:11], v[50:51]
	v_fma_f64 v[54:55], v[12:13], s[20:21], v[109:110]
	v_fma_f64 v[8:9], v[8:9], s[4:5], -v[109:110]
	v_fma_f64 v[12:13], v[12:13], s[24:25], -v[113:114]
	v_add_f64 v[26:27], v[26:27], v[34:35]
	v_add_f64 v[52:53], v[52:53], v[34:35]
	;; [unrolled: 1-line block ×3, first 2 shown]
	v_fma_f64 v[34:35], v[20:21], s[22:23], v[56:57]
	v_fma_f64 v[18:19], v[20:21], s[22:23], v[18:19]
	;; [unrolled: 1-line block ×3, first 2 shown]
	v_add_f64 v[28:29], v[28:29], v[48:49]
	v_add_f64 v[93:94], v[93:94], v[48:49]
	;; [unrolled: 1-line block ×3, first 2 shown]
	v_fma_f64 v[48:49], v[2:3], s[22:23], v[54:55]
	v_fma_f64 v[12:13], v[2:3], s[22:23], v[12:13]
	;; [unrolled: 1-line block ×3, first 2 shown]
	v_add_f64 v[30:31], v[36:37], v[32:33]
	v_add_f64 v[8:9], v[32:33], -v[36:37]
	v_add_f64 v[24:25], v[34:35], v[26:27]
	v_add_f64 v[32:33], v[18:19], v[14:15]
	v_add_f64 v[36:37], v[52:53], -v[20:21]
	v_add_f64 v[20:21], v[20:21], v[52:53]
	v_add_f64 v[109:110], v[16:17], -v[12:13]
	;; [unrolled: 2-line block ×3, first 2 shown]
	v_add_f64 v[2:3], v[14:15], -v[18:19]
	v_add_f64 v[18:19], v[12:13], v[16:17]
	v_add_f64 v[12:13], v[26:27], -v[34:35]
	v_add_f64 v[70:71], v[46:47], -v[44:45]
	v_add_f64 v[54:55], v[44:45], v[46:47]
	v_add_f64 v[56:57], v[28:29], -v[48:49]
	v_add_f64 v[47:48], v[48:49], v[28:29]
	ds_write2_b64 v149, v[4:5], v[58:59] offset1:52
	ds_write2_b64 v149, v[66:67], v[86:87] offset0:104 offset1:156
	v_add_u32_e32 v49, 0x400, v149
	v_lshl_add_u32 v58, v99, 3, 0
	ds_write2_b64 v49, v[40:41], v[62:63] offset0:80 offset1:132
	ds_write2_b64 v91, v[22:23], v[38:39] offset0:56 offset1:108
	;; [unrolled: 1-line block ×5, first 2 shown]
	v_add_u32_e32 v59, 0x1400, v58
	v_add_u32_e32 v62, 0x1800, v58
	ds_write2_b64 v59, v[42:43], v[24:25] offset0:88 offset1:140
	ds_write2_b64 v62, v[32:33], v[36:37] offset0:64 offset1:116
	;; [unrolled: 1-line block ×3, first 2 shown]
	ds_write_b64 v58, v[12:13] offset:8320
	s_waitcnt lgkmcnt(0)
	; wave barrier
	s_waitcnt lgkmcnt(0)
	buffer_load_dword v125, off, s[48:51], 0 offset:8 ; 4-byte Folded Reload
	v_add_u32_e32 v46, 0x1400, v149
	ds_read_b64 v[34:35], v149
	s_waitcnt vmcnt(0)
	ds_read_b64 v[36:37], v125
	ds_read2_b64 v[0:3], v46 offset0:88 offset1:140
	ds_read2_b64 v[4:7], v91 offset0:160 offset1:212
	ds_read_b64 v[40:41], v105
	ds_read2_b64 v[20:23], v92 offset0:64 offset1:116
	ds_read2_b64 v[24:27], v90 offset0:8 offset1:60
	;; [unrolled: 1-line block ×4, first 2 shown]
	ds_read_b64 v[42:43], v153
	ds_read_b64 v[44:45], v154
	;; [unrolled: 1-line block ×5, first 2 shown]
	ds_read_b64 v[8:9], v149 offset:8320
	s_waitcnt lgkmcnt(0)
	; wave barrier
	s_waitcnt lgkmcnt(0)
	ds_write2_b64 v149, v[80:81], v[60:61] offset1:52
	ds_write2_b64 v149, v[84:85], v[95:96] offset0:104 offset1:156
	ds_write2_b64 v49, v[10:11], v[64:65] offset0:80 offset1:132
	;; [unrolled: 1-line block ×9, first 2 shown]
	ds_write_b64 v58, v[47:48] offset:8320
	s_waitcnt lgkmcnt(0)
	; wave barrier
	s_waitcnt lgkmcnt(0)
	s_and_saveexec_b64 s[0:1], vcc
	s_cbranch_execz .LBB0_37
; %bb.36:
	v_mov_b32_e32 v103, 0
	v_lshlrev_b64 v[10:11], 4, v[102:103]
	v_mov_b32_e32 v99, s9
	v_add_co_u32_e32 v18, vcc, s8, v10
	v_addc_co_u32_e32 v19, vcc, v99, v11, vcc
	v_add_co_u32_e32 v10, vcc, 0x16a0, v18
	v_addc_co_u32_e32 v11, vcc, 0, v19, vcc
	;; [unrolled: 2-line block ×3, first 2 shown]
	global_load_dwordx4 v[47:50], v[18:19], off offset:1696
	global_load_dwordx4 v[51:54], v[10:11], off offset:16
	v_mov_b32_e32 v109, v103
	v_lshlrev_b64 v[10:11], 4, v[108:109]
	s_movk_i32 s4, 0x16a0
	v_add_co_u32_e32 v18, vcc, s8, v10
	v_addc_co_u32_e32 v19, vcc, v99, v11, vcc
	v_add_co_u32_e32 v10, vcc, s4, v18
	s_movk_i32 s5, 0x1000
	v_addc_co_u32_e32 v11, vcc, 0, v19, vcc
	v_add_co_u32_e32 v18, vcc, s5, v18
	v_addc_co_u32_e32 v19, vcc, 0, v19, vcc
	global_load_dwordx4 v[55:58], v[18:19], off offset:1696
	global_load_dwordx4 v[59:62], v[10:11], off offset:16
	v_mov_b32_e32 v108, v103
	v_lshlrev_b64 v[10:11], 4, v[107:108]
	v_mov_b32_e32 v107, v103
	v_add_co_u32_e32 v18, vcc, s8, v10
	v_addc_co_u32_e32 v19, vcc, v99, v11, vcc
	v_add_co_u32_e32 v10, vcc, s4, v18
	v_addc_co_u32_e32 v11, vcc, 0, v19, vcc
	v_add_co_u32_e32 v18, vcc, s5, v18
	v_addc_co_u32_e32 v19, vcc, 0, v19, vcc
	global_load_dwordx4 v[63:66], v[18:19], off offset:1696
	global_load_dwordx4 v[67:70], v[10:11], off offset:16
	v_add_u32_e32 v102, 0x1000, v149
	ds_read_b64 v[10:11], v156
	ds_read_b64 v[93:94], v155
	;; [unrolled: 1-line block ×4, first 2 shown]
	ds_read_b64 v[18:19], v149 offset:8320
	ds_read_b64 v[112:113], v149
	ds_read2_b64 v[71:74], v102 offset0:112 offset1:164
	v_lshlrev_b64 v[79:80], 4, v[106:107]
	v_mov_b32_e32 v105, v103
	v_lshlrev_b64 v[81:82], 4, v[104:105]
	v_add_co_u32_e32 v85, vcc, s8, v79
	v_addc_co_u32_e32 v86, vcc, v99, v80, vcc
	v_add_co_u32_e32 v91, vcc, s8, v81
	v_addc_co_u32_e32 v92, vcc, v99, v82, vcc
	v_add_u32_e32 v124, 0x1800, v149
	ds_read2_b64 v[75:78], v124 offset0:168 offset1:220
	v_add_co_u32_e32 v83, vcc, s4, v85
	v_addc_co_u32_e32 v84, vcc, 0, v86, vcc
	s_mov_b32 s0, 0xe8584caa
	s_mov_b32 s1, 0xbfebb67a
	;; [unrolled: 1-line block ×4, first 2 shown]
	s_waitcnt vmcnt(5)
	v_mul_f64 v[79:80], v[14:15], v[49:50]
	s_waitcnt vmcnt(4)
	v_mul_f64 v[81:82], v[8:9], v[53:54]
	s_waitcnt lgkmcnt(1)
	v_mul_f64 v[49:50], v[73:74], v[49:50]
	v_mul_f64 v[53:54], v[18:19], v[53:54]
	v_fma_f64 v[73:74], v[47:48], v[73:74], -v[79:80]
	v_fma_f64 v[18:19], v[51:52], v[18:19], -v[81:82]
	v_fma_f64 v[81:82], v[14:15], v[47:48], v[49:50]
	v_fma_f64 v[95:96], v[8:9], v[51:52], v[53:54]
	v_add_co_u32_e32 v8, vcc, s5, v85
	v_addc_co_u32_e32 v9, vcc, 0, v86, vcc
	v_add_f64 v[79:80], v[10:11], v[73:74]
	s_waitcnt vmcnt(3)
	v_mul_f64 v[14:15], v[12:13], v[57:58]
	s_waitcnt vmcnt(2)
	v_mul_f64 v[47:48], v[30:31], v[61:62]
	v_add_f64 v[49:50], v[73:74], v[18:19]
	v_add_f64 v[51:52], v[81:82], v[95:96]
	v_add_f64 v[87:88], v[73:74], -v[18:19]
	v_add_co_u32_e32 v85, vcc, s4, v91
	v_addc_co_u32_e32 v86, vcc, 0, v92, vcc
	v_fma_f64 v[97:98], v[55:56], v[71:72], -v[14:15]
	s_waitcnt lgkmcnt(0)
	v_fma_f64 v[104:105], v[59:60], v[77:78], -v[47:48]
	v_add_f64 v[14:15], v[81:82], -v[95:96]
	v_fma_f64 v[73:74], v[49:50], -0.5, v[10:11]
	v_fma_f64 v[89:90], v[51:52], -0.5, v[16:17]
	global_load_dwordx4 v[47:50], v[8:9], off offset:1696
	global_load_dwordx4 v[51:54], v[83:84], off offset:16
	v_add_co_u32_e32 v91, vcc, s5, v91
	v_addc_co_u32_e32 v92, vcc, 0, v92, vcc
	v_mul_f64 v[57:58], v[71:72], v[57:58]
	v_mul_f64 v[61:62], v[77:78], v[61:62]
	v_add_f64 v[18:19], v[79:80], v[18:19]
	v_fma_f64 v[10:11], v[14:15], s[0:1], v[73:74]
	v_fma_f64 v[14:15], v[14:15], s[2:3], v[73:74]
	global_load_dwordx4 v[71:74], v[91:92], off offset:1696
	global_load_dwordx4 v[77:80], v[85:86], off offset:16
	v_add_f64 v[83:84], v[97:98], v[104:105]
	v_add_f64 v[16:17], v[16:17], v[81:82]
	v_fma_f64 v[106:107], v[12:13], v[55:56], v[57:58]
	v_fma_f64 v[61:62], v[30:31], v[59:60], v[61:62]
	s_waitcnt vmcnt(5)
	v_mul_f64 v[30:31], v[26:27], v[65:66]
	ds_read2_b64 v[55:58], v102 offset0:8 offset1:60
	s_waitcnt vmcnt(4)
	v_mul_f64 v[59:60], v[28:29], v[69:70]
	v_mov_b32_e32 v102, v103
	ds_read_b64 v[114:115], v154
	v_fma_f64 v[116:117], v[83:84], -0.5, v[93:94]
	v_fma_f64 v[8:9], v[87:88], s[2:3], v[89:90]
	v_fma_f64 v[12:13], v[87:88], s[0:1], v[89:90]
	s_waitcnt lgkmcnt(1)
	v_fma_f64 v[120:121], v[63:64], v[57:58], -v[30:31]
	v_mul_f64 v[30:31], v[57:58], v[65:66]
	v_lshlrev_b64 v[57:58], 4, v[101:102]
	v_mul_f64 v[65:66], v[75:76], v[69:70]
	v_add_co_u32_e32 v57, vcc, s8, v57
	v_addc_co_u32_e32 v58, vcc, v99, v58, vcc
	v_add_co_u32_e32 v69, vcc, s4, v57
	v_addc_co_u32_e32 v70, vcc, 0, v58, vcc
	v_fma_f64 v[122:123], v[67:68], v[75:76], -v[59:60]
	v_add_co_u32_e32 v75, vcc, s5, v57
	v_addc_co_u32_e32 v76, vcc, 0, v58, vcc
	v_mov_b32_e32 v101, v103
	global_load_dwordx4 v[57:60], v[75:76], off offset:1696
	global_load_dwordx4 v[81:84], v[69:70], off offset:16
	v_lshlrev_b64 v[69:70], 4, v[100:101]
	v_add_f64 v[118:119], v[106:107], v[61:62]
	v_add_co_u32_e32 v75, vcc, s8, v69
	v_addc_co_u32_e32 v76, vcc, v99, v70, vcc
	v_add_co_u32_e32 v69, vcc, s4, v75
	v_addc_co_u32_e32 v70, vcc, 0, v76, vcc
	;; [unrolled: 2-line block ×3, first 2 shown]
	global_load_dwordx4 v[85:88], v[75:76], off offset:1696
	global_load_dwordx4 v[89:92], v[69:70], off offset:16
	v_add_f64 v[75:76], v[120:121], v[122:123]
	v_fma_f64 v[99:100], v[26:27], v[63:64], v[30:31]
	v_fma_f64 v[101:102], v[28:29], v[67:68], v[65:66]
	v_add_f64 v[26:27], v[93:94], v[97:98]
	v_fma_f64 v[30:31], v[118:119], -0.5, v[32:33]
	v_add_f64 v[65:66], v[97:98], -v[104:105]
	v_add_f64 v[67:68], v[32:33], v[106:107]
	v_add_f64 v[69:70], v[106:107], -v[61:62]
	s_waitcnt lgkmcnt(0)
	v_fma_f64 v[75:76], v[75:76], -0.5, v[114:115]
	v_add_f64 v[16:17], v[16:17], v[95:96]
	v_add_f64 v[93:94], v[99:100], -v[101:102]
	v_add_f64 v[63:64], v[26:27], v[104:105]
	ds_read_b64 v[106:107], v153
	v_fma_f64 v[26:27], v[65:66], s[2:3], v[30:31]
	v_fma_f64 v[30:31], v[65:66], s[0:1], v[30:31]
	v_add_f64 v[65:66], v[114:115], v[120:121]
	v_add_f64 v[61:62], v[67:68], v[61:62]
	v_fma_f64 v[28:29], v[69:70], s[0:1], v[116:117]
	v_fma_f64 v[67:68], v[93:94], s[0:1], v[75:76]
	;; [unrolled: 1-line block ×3, first 2 shown]
	ds_read2_b64 v[93:96], v124 offset0:64 offset1:116
	v_fma_f64 v[32:33], v[69:70], s[2:3], v[116:117]
	s_waitcnt vmcnt(7)
	v_mul_f64 v[103:104], v[24:25], v[49:50]
	s_waitcnt vmcnt(6)
	v_mul_f64 v[114:115], v[22:23], v[53:54]
	v_add_f64 v[69:70], v[99:100], v[101:102]
	v_add_f64 v[97:98], v[65:66], v[122:123]
	v_mul_f64 v[49:50], v[55:56], v[49:50]
	s_waitcnt lgkmcnt(0)
	v_mul_f64 v[65:66], v[95:96], v[53:54]
	v_add_u32_e32 v53, 0x800, v149
	v_add_f64 v[116:117], v[120:121], -v[122:123]
	v_fma_f64 v[103:104], v[47:48], v[55:56], -v[103:104]
	v_fma_f64 v[114:115], v[51:52], v[95:96], -v[114:115]
	s_waitcnt vmcnt(5)
	v_mul_f64 v[95:96], v[6:7], v[73:74]
	s_waitcnt vmcnt(4)
	v_mul_f64 v[118:119], v[20:21], v[79:80]
	ds_read2_b64 v[53:56], v53 offset0:160 offset1:212
	v_fma_f64 v[69:70], v[69:70], -0.5, v[44:45]
	v_fma_f64 v[24:25], v[24:25], v[47:48], v[49:50]
	v_fma_f64 v[47:48], v[22:23], v[51:52], v[65:66]
	v_add_f64 v[44:45], v[44:45], v[99:100]
	s_waitcnt lgkmcnt(0)
	v_mul_f64 v[49:50], v[55:56], v[73:74]
	v_fma_f64 v[51:52], v[71:72], v[55:56], -v[95:96]
	v_fma_f64 v[118:119], v[77:78], v[93:94], -v[118:119]
	v_mul_f64 v[55:56], v[93:94], v[79:80]
	v_add_f64 v[22:23], v[103:104], v[114:115]
	v_fma_f64 v[65:66], v[116:117], s[2:3], v[69:70]
	v_fma_f64 v[73:74], v[116:117], s[0:1], v[69:70]
	v_add_f64 v[69:70], v[24:25], v[47:48]
	v_fma_f64 v[116:117], v[6:7], v[71:72], v[49:50]
	v_add_f64 v[93:94], v[24:25], -v[47:48]
	v_add_f64 v[99:100], v[51:52], v[118:119]
	v_fma_f64 v[77:78], v[20:21], v[77:78], v[55:56]
	v_fma_f64 v[79:80], v[22:23], -0.5, v[106:107]
	v_add_f64 v[6:7], v[106:107], v[103:104]
	v_add_f64 v[95:96], v[44:45], v[101:102]
	v_fma_f64 v[55:56], v[69:70], -0.5, v[42:43]
	v_add_f64 v[69:70], v[103:104], -v[114:115]
	v_add_f64 v[24:25], v[42:43], v[24:25]
	v_fma_f64 v[71:72], v[99:100], -0.5, v[108:109]
	v_add_f64 v[99:100], v[116:117], -v[77:78]
	v_fma_f64 v[22:23], v[93:94], s[0:1], v[79:80]
	v_fma_f64 v[44:45], v[93:94], s[2:3], v[79:80]
	v_add_f64 v[49:50], v[6:7], v[114:115]
	v_add_f64 v[79:80], v[116:117], v[77:78]
	v_fma_f64 v[20:21], v[69:70], s[2:3], v[55:56]
	s_waitcnt vmcnt(2)
	v_mul_f64 v[93:94], v[2:3], v[83:84]
	v_fma_f64 v[42:43], v[69:70], s[0:1], v[55:56]
	v_fma_f64 v[55:56], v[99:100], s[0:1], v[71:72]
	;; [unrolled: 1-line block ×3, first 2 shown]
	v_add_f64 v[99:100], v[108:109], v[51:52]
	ds_read2_b64 v[69:72], v46 offset0:88 offset1:140
	v_add_f64 v[47:48], v[24:25], v[47:48]
	v_mul_f64 v[24:25], v[4:5], v[59:60]
	v_mul_f64 v[101:102], v[53:54], v[59:60]
	v_fma_f64 v[79:80], v[79:80], -0.5, v[40:41]
	s_waitcnt lgkmcnt(0)
	v_mul_f64 v[83:84], v[71:72], v[83:84]
	v_fma_f64 v[71:72], v[81:82], v[71:72], -v[93:94]
	v_add_f64 v[59:60], v[99:100], v[118:119]
	ds_read_b64 v[99:100], v125
	s_waitcnt vmcnt(1)
	v_mul_f64 v[93:94], v[36:37], v[87:88]
	s_waitcnt vmcnt(0)
	v_mul_f64 v[103:104], v[0:1], v[91:92]
	v_add_f64 v[51:52], v[51:52], -v[118:119]
	v_fma_f64 v[24:25], v[57:58], v[53:54], -v[24:25]
	v_fma_f64 v[101:102], v[4:5], v[57:58], v[101:102]
	v_fma_f64 v[81:82], v[2:3], v[81:82], v[83:84]
	s_waitcnt lgkmcnt(0)
	v_mul_f64 v[57:58], v[99:100], v[87:88]
	v_add_f64 v[40:41], v[40:41], v[116:117]
	v_fma_f64 v[83:84], v[85:86], v[99:100], -v[93:94]
	v_fma_f64 v[93:94], v[89:90], v[69:70], -v[103:104]
	v_mul_f64 v[69:70], v[69:70], v[91:92]
	v_fma_f64 v[53:54], v[51:52], s[2:3], v[79:80]
	v_fma_f64 v[4:5], v[51:52], s[0:1], v[79:80]
	v_add_f64 v[51:52], v[101:102], v[81:82]
	v_fma_f64 v[85:86], v[36:37], v[85:86], v[57:58]
	v_add_f64 v[57:58], v[40:41], v[77:78]
	v_add_f64 v[40:41], v[38:39], v[101:102]
	;; [unrolled: 1-line block ×3, first 2 shown]
	v_fma_f64 v[89:90], v[0:1], v[89:90], v[69:70]
	v_add_f64 v[2:3], v[24:25], v[71:72]
	v_add_f64 v[0:1], v[110:111], v[24:25]
	v_fma_f64 v[36:37], v[51:52], -0.5, v[38:39]
	v_add_f64 v[24:25], v[24:25], -v[71:72]
	v_add_f64 v[87:88], v[101:102], -v[81:82]
	v_add_f64 v[69:70], v[40:41], v[81:82]
	v_fma_f64 v[51:52], v[91:92], -0.5, v[112:113]
	v_add_f64 v[91:92], v[85:86], v[89:90]
	v_add_f64 v[77:78], v[85:86], -v[89:90]
	v_fma_f64 v[79:80], v[2:3], -0.5, v[110:111]
	v_add_f64 v[71:72], v[0:1], v[71:72]
	v_fma_f64 v[0:1], v[24:25], s[2:3], v[36:37]
	v_fma_f64 v[36:37], v[24:25], s[0:1], v[36:37]
	v_add_f64 v[24:25], v[112:113], v[83:84]
	v_add_f64 v[81:82], v[83:84], -v[93:94]
	v_fma_f64 v[40:41], v[91:92], -0.5, v[34:35]
	v_add_f64 v[34:35], v[34:35], v[85:86]
	v_mad_u64_u32 v[91:92], s[4:5], s12, v146, 0
	v_fma_f64 v[2:3], v[87:88], s[0:1], v[79:80]
	v_fma_f64 v[38:39], v[87:88], s[2:3], v[79:80]
	v_add_f64 v[87:88], v[24:25], v[93:94]
	v_mov_b32_e32 v24, v92
	v_mad_u64_u32 v[24:25], s[4:5], s13, v146, v[24:25]
	v_add_f64 v[85:86], v[34:35], v[89:90]
	buffer_load_dword v34, off, s[48:51], 0 ; 4-byte Folded Reload
	buffer_load_dword v35, off, s[48:51], 0 offset:4 ; 4-byte Folded Reload
	v_fma_f64 v[79:80], v[77:78], s[0:1], v[51:52]
	v_fma_f64 v[83:84], v[77:78], s[2:3], v[51:52]
	;; [unrolled: 1-line block ×4, first 2 shown]
	v_mov_b32_e32 v92, v24
	v_mov_b32_e32 v24, s15
	v_add_u32_e32 v40, 0x16c, v146
	s_waitcnt vmcnt(1)
	v_add_co_u32_e32 v46, vcc, s14, v34
	s_waitcnt vmcnt(0)
	v_addc_co_u32_e32 v89, vcc, v24, v35, vcc
	v_mad_u64_u32 v[34:35], s[0:1], s12, v40, 0
	v_lshlrev_b64 v[24:25], 4, v[91:92]
	v_mad_u64_u32 v[40:41], s[0:1], s13, v40, v[35:36]
	v_add_u32_e32 v41, 0x2d8, v146
	v_mad_u64_u32 v[51:52], s[0:1], s12, v41, 0
	v_add_co_u32_e32 v24, vcc, v46, v24
	v_addc_co_u32_e32 v25, vcc, v89, v25, vcc
	v_mov_b32_e32 v35, v40
	global_store_dwordx4 v[24:25], v[85:88], off
	v_lshlrev_b64 v[24:25], 4, v[34:35]
	v_mov_b32_e32 v34, v52
	v_mad_u64_u32 v[34:35], s[0:1], s13, v41, v[34:35]
	v_add_u32_e32 v40, 52, v146
	v_add_co_u32_e32 v24, vcc, v46, v24
	v_mov_b32_e32 v52, v34
	v_mad_u64_u32 v[34:35], s[2:3], s12, v40, 0
	v_addc_co_u32_e32 v25, vcc, v89, v25, vcc
	v_mad_u64_u32 v[40:41], s[2:3], s13, v40, v[35:36]
	v_add_u32_e32 v41, 0x1a0, v146
	global_store_dwordx4 v[24:25], v[81:84], off
	v_lshlrev_b64 v[24:25], 4, v[51:52]
	v_mad_u64_u32 v[51:52], s[2:3], s12, v41, 0
	v_add_co_u32_e32 v24, vcc, v46, v24
	v_addc_co_u32_e32 v25, vcc, v89, v25, vcc
	v_mov_b32_e32 v35, v40
	global_store_dwordx4 v[24:25], v[77:80], off
	v_lshlrev_b64 v[24:25], 4, v[34:35]
	v_mov_b32_e32 v34, v52
	v_mad_u64_u32 v[34:35], s[2:3], s13, v41, v[34:35]
	v_add_u32_e32 v40, 0x30c, v146
	v_add_co_u32_e32 v24, vcc, v46, v24
	v_mov_b32_e32 v52, v34
	v_mad_u64_u32 v[34:35], s[2:3], s12, v40, 0
	v_addc_co_u32_e32 v25, vcc, v89, v25, vcc
	v_mad_u64_u32 v[40:41], s[2:3], s13, v40, v[35:36]
	global_store_dwordx4 v[24:25], v[69:72], off
	v_lshlrev_b64 v[24:25], 4, v[51:52]
	v_mov_b32_e32 v35, v40
	v_add_co_u32_e32 v24, vcc, v46, v24
	v_addc_co_u32_e32 v25, vcc, v89, v25, vcc
	v_add_u32_e32 v41, 0x68, v146
	global_store_dwordx4 v[24:25], v[36:39], off
	v_lshlrev_b64 v[24:25], 4, v[34:35]
	v_mad_u64_u32 v[51:52], s[2:3], s12, v41, 0
	v_add_co_u32_e32 v24, vcc, v46, v24
	v_addc_co_u32_e32 v25, vcc, v89, v25, vcc
	global_store_dwordx4 v[24:25], v[0:3], off
	v_add_u32_e32 v24, 0x1d4, v146
	v_mov_b32_e32 v34, v52
	v_mad_u64_u32 v[2:3], s[2:3], s12, v24, 0
	v_mad_u64_u32 v[34:35], s[2:3], s13, v41, v[34:35]
	;; [unrolled: 1-line block ×3, first 2 shown]
	v_mov_b32_e32 v52, v34
	v_or_b32_e32 v25, 0x340, v146
	v_lshlrev_b64 v[0:1], 4, v[51:52]
	v_mad_u64_u32 v[34:35], s[2:3], s12, v25, 0
	v_add_co_u32_e32 v0, vcc, v46, v0
	v_addc_co_u32_e32 v1, vcc, v89, v1, vcc
	v_mov_b32_e32 v3, v24
	global_store_dwordx4 v[0:1], v[57:60], off
	v_lshlrev_b64 v[0:1], 4, v[2:3]
	v_mov_b32_e32 v2, v35
	v_mad_u64_u32 v[2:3], s[2:3], s13, v25, v[2:3]
	v_add_co_u32_e32 v0, vcc, v46, v0
	v_addc_co_u32_e32 v1, vcc, v89, v1, vcc
	global_store_dwordx4 v[0:1], v[4:7], off
	v_mov_b32_e32 v35, v2
	v_add_u32_e32 v4, 0x9c, v146
	v_mad_u64_u32 v[2:3], s[2:3], s12, v4, 0
	v_lshlrev_b64 v[0:1], 4, v[34:35]
	s_mov_b32 s1, 0x5a05a05b
	v_mad_u64_u32 v[3:4], s[2:3], s13, v4, v[3:4]
	v_mad_u64_u32 v[4:5], s[2:3], s12, v150, 0
	v_add_co_u32_e32 v0, vcc, v46, v0
	v_addc_co_u32_e32 v1, vcc, v89, v1, vcc
	global_store_dwordx4 v[0:1], v[53:56], off
	v_lshlrev_b64 v[0:1], 4, v[2:3]
	v_mov_b32_e32 v2, v5
	v_mad_u64_u32 v[2:3], s[2:3], s13, v150, v[2:3]
	v_add_co_u32_e32 v0, vcc, v46, v0
	v_addc_co_u32_e32 v1, vcc, v89, v1, vcc
	v_mov_b32_e32 v5, v2
	global_store_dwordx4 v[0:1], v[47:50], off
	v_lshlrev_b64 v[0:1], 4, v[4:5]
	v_add_u32_e32 v4, 0x374, v146
	v_mad_u64_u32 v[2:3], s[2:3], s12, v4, 0
	v_add_co_u32_e32 v0, vcc, v46, v0
	v_mad_u64_u32 v[3:4], s[2:3], s13, v4, v[3:4]
	v_add_u32_e32 v4, 0xd0, v146
	v_lshrrev_b32_e32 v5, 2, v4
	v_mul_hi_u32 v5, v5, s1
	v_addc_co_u32_e32 v1, vcc, v89, v1, vcc
	s_movk_i32 s0, 0x2d8
	global_store_dwordx4 v[0:1], v[42:45], off
	v_lshlrev_b64 v[0:1], 4, v[2:3]
	v_lshrrev_b32_e32 v2, 5, v5
	v_mad_u32_u24 v6, v2, s0, v4
	v_mad_u64_u32 v[2:3], s[2:3], s12, v6, 0
	v_add_u32_e32 v7, 0x16c, v6
	v_add_co_u32_e32 v0, vcc, v46, v0
	v_mad_u64_u32 v[3:4], s[2:3], s13, v6, v[3:4]
	v_mad_u64_u32 v[4:5], s[2:3], s12, v7, 0
	v_addc_co_u32_e32 v1, vcc, v89, v1, vcc
	global_store_dwordx4 v[0:1], v[20:23], off
	v_lshlrev_b64 v[0:1], 4, v[2:3]
	v_mov_b32_e32 v2, v5
	v_mad_u64_u32 v[2:3], s[2:3], s13, v7, v[2:3]
	v_add_co_u32_e32 v0, vcc, v46, v0
	v_addc_co_u32_e32 v1, vcc, v89, v1, vcc
	v_mov_b32_e32 v5, v2
	global_store_dwordx4 v[0:1], v[95:98], off
	v_lshlrev_b64 v[0:1], 4, v[4:5]
	v_add_u32_e32 v4, 0x2d8, v6
	v_mad_u64_u32 v[2:3], s[2:3], s12, v4, 0
	v_add_co_u32_e32 v0, vcc, v46, v0
	v_mad_u64_u32 v[3:4], s[2:3], s13, v4, v[3:4]
	v_add_u32_e32 v4, 0x104, v146
	v_lshrrev_b32_e32 v5, 2, v4
	v_mul_hi_u32 v5, v5, s1
	v_addc_co_u32_e32 v1, vcc, v89, v1, vcc
	global_store_dwordx4 v[0:1], v[73:76], off
	v_lshlrev_b64 v[0:1], 4, v[2:3]
	v_lshrrev_b32_e32 v2, 5, v5
	v_mad_u32_u24 v6, v2, s0, v4
	v_mad_u64_u32 v[2:3], s[2:3], s12, v6, 0
	v_add_u32_e32 v7, 0x16c, v6
	v_add_co_u32_e32 v0, vcc, v46, v0
	v_mad_u64_u32 v[3:4], s[2:3], s13, v6, v[3:4]
	v_mad_u64_u32 v[4:5], s[2:3], s12, v7, 0
	v_addc_co_u32_e32 v1, vcc, v89, v1, vcc
	global_store_dwordx4 v[0:1], v[65:68], off
	v_lshlrev_b64 v[0:1], 4, v[2:3]
	v_mov_b32_e32 v2, v5
	v_mad_u64_u32 v[2:3], s[2:3], s13, v7, v[2:3]
	v_add_co_u32_e32 v0, vcc, v46, v0
	v_addc_co_u32_e32 v1, vcc, v89, v1, vcc
	v_mov_b32_e32 v5, v2
	global_store_dwordx4 v[0:1], v[61:64], off
	v_lshlrev_b64 v[0:1], 4, v[4:5]
	v_add_u32_e32 v4, 0x2d8, v6
	v_add_u32_e32 v5, 0x138, v146
	v_mad_u64_u32 v[2:3], s[2:3], s12, v4, 0
	v_lshrrev_b32_e32 v6, 2, v5
	v_mul_hi_u32 v6, v6, s1
	v_mad_u64_u32 v[3:4], s[2:3], s13, v4, v[3:4]
	v_add_co_u32_e32 v0, vcc, v46, v0
	v_lshrrev_b32_e32 v4, 5, v6
	v_mad_u32_u24 v6, v4, s0, v5
	v_mad_u64_u32 v[4:5], s[0:1], s12, v6, 0
	v_addc_co_u32_e32 v1, vcc, v89, v1, vcc
	global_store_dwordx4 v[0:1], v[30:33], off
	v_lshlrev_b64 v[0:1], 4, v[2:3]
	v_mov_b32_e32 v2, v5
	v_mad_u64_u32 v[2:3], s[0:1], s13, v6, v[2:3]
	v_add_co_u32_e32 v0, vcc, v46, v0
	v_addc_co_u32_e32 v1, vcc, v89, v1, vcc
	v_mov_b32_e32 v5, v2
	global_store_dwordx4 v[0:1], v[26:29], off
	v_lshlrev_b64 v[0:1], 4, v[4:5]
	v_add_u32_e32 v4, 0x16c, v6
	v_mad_u64_u32 v[2:3], s[0:1], s12, v4, 0
	v_add_u32_e32 v6, 0x2d8, v6
	v_add_co_u32_e32 v0, vcc, v46, v0
	v_mad_u64_u32 v[3:4], s[0:1], s13, v4, v[3:4]
	v_mad_u64_u32 v[4:5], s[0:1], s12, v6, 0
	v_addc_co_u32_e32 v1, vcc, v89, v1, vcc
	global_store_dwordx4 v[0:1], v[16:19], off
	v_lshlrev_b64 v[0:1], 4, v[2:3]
	v_mov_b32_e32 v2, v5
	v_mad_u64_u32 v[2:3], s[0:1], s13, v6, v[2:3]
	v_add_co_u32_e32 v0, vcc, v46, v0
	v_addc_co_u32_e32 v1, vcc, v89, v1, vcc
	v_mov_b32_e32 v5, v2
	global_store_dwordx4 v[0:1], v[12:15], off
	v_lshlrev_b64 v[0:1], 4, v[4:5]
	v_add_co_u32_e32 v0, vcc, v46, v0
	v_addc_co_u32_e32 v1, vcc, v89, v1, vcc
	global_store_dwordx4 v[0:1], v[8:11], off
.LBB0_37:
	s_endpgm
	.section	.rodata,"a",@progbits
	.p2align	6, 0x0
	.amdhsa_kernel fft_rtc_back_len1092_factors_2_2_13_7_3_wgs_52_tpt_52_halfLds_dp_ip_CI_sbrr_dirReg
		.amdhsa_group_segment_fixed_size 0
		.amdhsa_private_segment_fixed_size 16
		.amdhsa_kernarg_size 88
		.amdhsa_user_sgpr_count 6
		.amdhsa_user_sgpr_private_segment_buffer 1
		.amdhsa_user_sgpr_dispatch_ptr 0
		.amdhsa_user_sgpr_queue_ptr 0
		.amdhsa_user_sgpr_kernarg_segment_ptr 1
		.amdhsa_user_sgpr_dispatch_id 0
		.amdhsa_user_sgpr_flat_scratch_init 0
		.amdhsa_user_sgpr_private_segment_size 0
		.amdhsa_uses_dynamic_stack 0
		.amdhsa_system_sgpr_private_segment_wavefront_offset 1
		.amdhsa_system_sgpr_workgroup_id_x 1
		.amdhsa_system_sgpr_workgroup_id_y 0
		.amdhsa_system_sgpr_workgroup_id_z 0
		.amdhsa_system_sgpr_workgroup_info 0
		.amdhsa_system_vgpr_workitem_id 0
		.amdhsa_next_free_vgpr 256
		.amdhsa_next_free_sgpr 52
		.amdhsa_reserve_vcc 1
		.amdhsa_reserve_flat_scratch 0
		.amdhsa_float_round_mode_32 0
		.amdhsa_float_round_mode_16_64 0
		.amdhsa_float_denorm_mode_32 3
		.amdhsa_float_denorm_mode_16_64 3
		.amdhsa_dx10_clamp 1
		.amdhsa_ieee_mode 1
		.amdhsa_fp16_overflow 0
		.amdhsa_exception_fp_ieee_invalid_op 0
		.amdhsa_exception_fp_denorm_src 0
		.amdhsa_exception_fp_ieee_div_zero 0
		.amdhsa_exception_fp_ieee_overflow 0
		.amdhsa_exception_fp_ieee_underflow 0
		.amdhsa_exception_fp_ieee_inexact 0
		.amdhsa_exception_int_div_zero 0
	.end_amdhsa_kernel
	.text
.Lfunc_end0:
	.size	fft_rtc_back_len1092_factors_2_2_13_7_3_wgs_52_tpt_52_halfLds_dp_ip_CI_sbrr_dirReg, .Lfunc_end0-fft_rtc_back_len1092_factors_2_2_13_7_3_wgs_52_tpt_52_halfLds_dp_ip_CI_sbrr_dirReg
                                        ; -- End function
	.section	.AMDGPU.csdata,"",@progbits
; Kernel info:
; codeLenInByte = 20272
; NumSgprs: 56
; NumVgprs: 256
; ScratchSize: 16
; MemoryBound: 1
; FloatMode: 240
; IeeeMode: 1
; LDSByteSize: 0 bytes/workgroup (compile time only)
; SGPRBlocks: 6
; VGPRBlocks: 63
; NumSGPRsForWavesPerEU: 56
; NumVGPRsForWavesPerEU: 256
; Occupancy: 1
; WaveLimiterHint : 1
; COMPUTE_PGM_RSRC2:SCRATCH_EN: 1
; COMPUTE_PGM_RSRC2:USER_SGPR: 6
; COMPUTE_PGM_RSRC2:TRAP_HANDLER: 0
; COMPUTE_PGM_RSRC2:TGID_X_EN: 1
; COMPUTE_PGM_RSRC2:TGID_Y_EN: 0
; COMPUTE_PGM_RSRC2:TGID_Z_EN: 0
; COMPUTE_PGM_RSRC2:TIDIG_COMP_CNT: 0
	.type	__hip_cuid_5ecc76100340d884,@object ; @__hip_cuid_5ecc76100340d884
	.section	.bss,"aw",@nobits
	.globl	__hip_cuid_5ecc76100340d884
__hip_cuid_5ecc76100340d884:
	.byte	0                               ; 0x0
	.size	__hip_cuid_5ecc76100340d884, 1

	.ident	"AMD clang version 19.0.0git (https://github.com/RadeonOpenCompute/llvm-project roc-6.4.0 25133 c7fe45cf4b819c5991fe208aaa96edf142730f1d)"
	.section	".note.GNU-stack","",@progbits
	.addrsig
	.addrsig_sym __hip_cuid_5ecc76100340d884
	.amdgpu_metadata
---
amdhsa.kernels:
  - .args:
      - .actual_access:  read_only
        .address_space:  global
        .offset:         0
        .size:           8
        .value_kind:     global_buffer
      - .offset:         8
        .size:           8
        .value_kind:     by_value
      - .actual_access:  read_only
        .address_space:  global
        .offset:         16
        .size:           8
        .value_kind:     global_buffer
      - .actual_access:  read_only
        .address_space:  global
        .offset:         24
        .size:           8
        .value_kind:     global_buffer
      - .offset:         32
        .size:           8
        .value_kind:     by_value
      - .actual_access:  read_only
        .address_space:  global
        .offset:         40
        .size:           8
        .value_kind:     global_buffer
      - .actual_access:  read_only
        .address_space:  global
        .offset:         48
        .size:           8
        .value_kind:     global_buffer
      - .offset:         56
        .size:           4
        .value_kind:     by_value
      - .actual_access:  read_only
        .address_space:  global
        .offset:         64
        .size:           8
        .value_kind:     global_buffer
      - .actual_access:  read_only
        .address_space:  global
        .offset:         72
        .size:           8
        .value_kind:     global_buffer
      - .address_space:  global
        .offset:         80
        .size:           8
        .value_kind:     global_buffer
    .group_segment_fixed_size: 0
    .kernarg_segment_align: 8
    .kernarg_segment_size: 88
    .language:       OpenCL C
    .language_version:
      - 2
      - 0
    .max_flat_workgroup_size: 52
    .name:           fft_rtc_back_len1092_factors_2_2_13_7_3_wgs_52_tpt_52_halfLds_dp_ip_CI_sbrr_dirReg
    .private_segment_fixed_size: 16
    .sgpr_count:     56
    .sgpr_spill_count: 0
    .symbol:         fft_rtc_back_len1092_factors_2_2_13_7_3_wgs_52_tpt_52_halfLds_dp_ip_CI_sbrr_dirReg.kd
    .uniform_work_group_size: 1
    .uses_dynamic_stack: false
    .vgpr_count:     256
    .vgpr_spill_count: 3
    .wavefront_size: 64
amdhsa.target:   amdgcn-amd-amdhsa--gfx906
amdhsa.version:
  - 1
  - 2
...

	.end_amdgpu_metadata
